;; amdgpu-corpus repo=ROCm/rocFFT kind=compiled arch=gfx950 opt=O3
	.text
	.amdgcn_target "amdgcn-amd-amdhsa--gfx950"
	.amdhsa_code_object_version 6
	.protected	fft_rtc_fwd_len1440_factors_10_16_3_3_wgs_90_tpt_90_halfLds_sp_ip_CI_unitstride_sbrr_R2C_dirReg ; -- Begin function fft_rtc_fwd_len1440_factors_10_16_3_3_wgs_90_tpt_90_halfLds_sp_ip_CI_unitstride_sbrr_R2C_dirReg
	.globl	fft_rtc_fwd_len1440_factors_10_16_3_3_wgs_90_tpt_90_halfLds_sp_ip_CI_unitstride_sbrr_R2C_dirReg
	.p2align	8
	.type	fft_rtc_fwd_len1440_factors_10_16_3_3_wgs_90_tpt_90_halfLds_sp_ip_CI_unitstride_sbrr_R2C_dirReg,@function
fft_rtc_fwd_len1440_factors_10_16_3_3_wgs_90_tpt_90_halfLds_sp_ip_CI_unitstride_sbrr_R2C_dirReg: ; @fft_rtc_fwd_len1440_factors_10_16_3_3_wgs_90_tpt_90_halfLds_sp_ip_CI_unitstride_sbrr_R2C_dirReg
; %bb.0:
	s_load_dwordx2 s[4:5], s[0:1], 0x50
	s_load_dwordx4 s[8:11], s[0:1], 0x0
	s_load_dwordx2 s[6:7], s[0:1], 0x18
	v_mul_u32_u24_e32 v1, 0x2d9, v0
	v_add_u32_sdwa v6, s2, v1 dst_sel:DWORD dst_unused:UNUSED_PAD src0_sel:DWORD src1_sel:WORD_1
	v_mov_b32_e32 v4, 0
	s_waitcnt lgkmcnt(0)
	v_cmp_lt_u64_e64 s[2:3], s[10:11], 2
	v_mov_b32_e32 v7, v4
	s_and_b64 vcc, exec, s[2:3]
	v_mov_b64_e32 v[2:3], 0
	s_cbranch_vccnz .LBB0_8
; %bb.1:
	s_load_dwordx2 s[2:3], s[0:1], 0x10
	s_add_u32 s12, s6, 8
	s_addc_u32 s13, s7, 0
	s_mov_b64 s[14:15], 1
	v_mov_b64_e32 v[2:3], 0
	s_waitcnt lgkmcnt(0)
	s_add_u32 s16, s2, 8
	s_addc_u32 s17, s3, 0
.LBB0_2:                                ; =>This Inner Loop Header: Depth=1
	s_load_dwordx2 s[18:19], s[16:17], 0x0
                                        ; implicit-def: $vgpr8_vgpr9
	s_waitcnt lgkmcnt(0)
	v_or_b32_e32 v5, s19, v7
	v_cmp_ne_u64_e32 vcc, 0, v[4:5]
	s_and_saveexec_b64 s[2:3], vcc
	s_xor_b64 s[20:21], exec, s[2:3]
	s_cbranch_execz .LBB0_4
; %bb.3:                                ;   in Loop: Header=BB0_2 Depth=1
	v_cvt_f32_u32_e32 v1, s18
	v_cvt_f32_u32_e32 v5, s19
	s_sub_u32 s2, 0, s18
	s_subb_u32 s3, 0, s19
	v_fmac_f32_e32 v1, 0x4f800000, v5
	v_rcp_f32_e32 v1, v1
	s_nop 0
	v_mul_f32_e32 v1, 0x5f7ffffc, v1
	v_mul_f32_e32 v5, 0x2f800000, v1
	v_trunc_f32_e32 v5, v5
	v_fmac_f32_e32 v1, 0xcf800000, v5
	v_cvt_u32_f32_e32 v5, v5
	v_cvt_u32_f32_e32 v1, v1
	v_mul_lo_u32 v8, s2, v5
	v_mul_hi_u32 v10, s2, v1
	v_mul_lo_u32 v9, s3, v1
	v_add_u32_e32 v10, v10, v8
	v_mul_lo_u32 v12, s2, v1
	v_add_u32_e32 v13, v10, v9
	v_mul_hi_u32 v8, v1, v12
	v_mul_hi_u32 v11, v1, v13
	v_mul_lo_u32 v10, v1, v13
	v_mov_b32_e32 v9, v4
	v_lshl_add_u64 v[8:9], v[8:9], 0, v[10:11]
	v_mul_hi_u32 v11, v5, v12
	v_mul_lo_u32 v12, v5, v12
	v_add_co_u32_e32 v8, vcc, v8, v12
	v_mul_hi_u32 v10, v5, v13
	s_nop 0
	v_addc_co_u32_e32 v8, vcc, v9, v11, vcc
	v_mov_b32_e32 v9, v4
	s_nop 0
	v_addc_co_u32_e32 v11, vcc, 0, v10, vcc
	v_mul_lo_u32 v10, v5, v13
	v_lshl_add_u64 v[8:9], v[8:9], 0, v[10:11]
	v_add_co_u32_e32 v1, vcc, v1, v8
	v_mul_lo_u32 v10, s2, v1
	s_nop 0
	v_addc_co_u32_e32 v5, vcc, v5, v9, vcc
	v_mul_lo_u32 v8, s2, v5
	v_mul_hi_u32 v9, s2, v1
	v_add_u32_e32 v8, v9, v8
	v_mul_lo_u32 v9, s3, v1
	v_add_u32_e32 v12, v8, v9
	v_mul_hi_u32 v14, v5, v10
	v_mul_lo_u32 v15, v5, v10
	v_mul_hi_u32 v9, v1, v12
	v_mul_lo_u32 v8, v1, v12
	v_mul_hi_u32 v10, v1, v10
	v_mov_b32_e32 v11, v4
	v_lshl_add_u64 v[8:9], v[10:11], 0, v[8:9]
	v_add_co_u32_e32 v8, vcc, v8, v15
	v_mul_hi_u32 v13, v5, v12
	s_nop 0
	v_addc_co_u32_e32 v8, vcc, v9, v14, vcc
	v_mul_lo_u32 v10, v5, v12
	s_nop 0
	v_addc_co_u32_e32 v11, vcc, 0, v13, vcc
	v_mov_b32_e32 v9, v4
	v_lshl_add_u64 v[8:9], v[8:9], 0, v[10:11]
	v_add_co_u32_e32 v1, vcc, v1, v8
	v_mul_hi_u32 v10, v6, v1
	s_nop 0
	v_addc_co_u32_e32 v5, vcc, v5, v9, vcc
	v_mad_u64_u32 v[8:9], s[2:3], v6, v5, 0
	v_mov_b32_e32 v11, v4
	v_lshl_add_u64 v[8:9], v[10:11], 0, v[8:9]
	v_mad_u64_u32 v[12:13], s[2:3], v7, v1, 0
	v_add_co_u32_e32 v1, vcc, v8, v12
	v_mad_u64_u32 v[10:11], s[2:3], v7, v5, 0
	s_nop 0
	v_addc_co_u32_e32 v8, vcc, v9, v13, vcc
	v_mov_b32_e32 v9, v4
	s_nop 0
	v_addc_co_u32_e32 v11, vcc, 0, v11, vcc
	v_lshl_add_u64 v[8:9], v[8:9], 0, v[10:11]
	v_mul_lo_u32 v1, s19, v8
	v_mul_lo_u32 v5, s18, v9
	v_mad_u64_u32 v[10:11], s[2:3], s18, v8, 0
	v_add3_u32 v1, v11, v5, v1
	v_sub_u32_e32 v5, v7, v1
	v_mov_b32_e32 v11, s19
	v_sub_co_u32_e32 v14, vcc, v6, v10
	v_lshl_add_u64 v[12:13], v[8:9], 0, 1
	s_nop 0
	v_subb_co_u32_e64 v5, s[2:3], v5, v11, vcc
	v_subrev_co_u32_e64 v10, s[2:3], s18, v14
	v_subb_co_u32_e32 v1, vcc, v7, v1, vcc
	s_nop 0
	v_subbrev_co_u32_e64 v5, s[2:3], 0, v5, s[2:3]
	v_cmp_le_u32_e64 s[2:3], s19, v5
	v_cmp_le_u32_e32 vcc, s19, v1
	s_nop 0
	v_cndmask_b32_e64 v11, 0, -1, s[2:3]
	v_cmp_le_u32_e64 s[2:3], s18, v10
	s_nop 1
	v_cndmask_b32_e64 v10, 0, -1, s[2:3]
	v_cmp_eq_u32_e64 s[2:3], s19, v5
	s_nop 1
	v_cndmask_b32_e64 v5, v11, v10, s[2:3]
	v_lshl_add_u64 v[10:11], v[8:9], 0, 2
	v_cmp_ne_u32_e64 s[2:3], 0, v5
	s_nop 1
	v_cndmask_b32_e64 v5, v13, v11, s[2:3]
	v_cndmask_b32_e64 v11, 0, -1, vcc
	v_cmp_le_u32_e32 vcc, s18, v14
	s_nop 1
	v_cndmask_b32_e64 v13, 0, -1, vcc
	v_cmp_eq_u32_e32 vcc, s19, v1
	s_nop 1
	v_cndmask_b32_e32 v1, v11, v13, vcc
	v_cmp_ne_u32_e32 vcc, 0, v1
	v_cndmask_b32_e64 v1, v12, v10, s[2:3]
	s_nop 0
	v_cndmask_b32_e32 v9, v9, v5, vcc
	v_cndmask_b32_e32 v8, v8, v1, vcc
.LBB0_4:                                ;   in Loop: Header=BB0_2 Depth=1
	s_andn2_saveexec_b64 s[2:3], s[20:21]
	s_cbranch_execz .LBB0_6
; %bb.5:                                ;   in Loop: Header=BB0_2 Depth=1
	v_cvt_f32_u32_e32 v1, s18
	s_sub_i32 s20, 0, s18
	v_rcp_iflag_f32_e32 v1, v1
	s_nop 0
	v_mul_f32_e32 v1, 0x4f7ffffe, v1
	v_cvt_u32_f32_e32 v1, v1
	v_mul_lo_u32 v5, s20, v1
	v_mul_hi_u32 v5, v1, v5
	v_add_u32_e32 v1, v1, v5
	v_mul_hi_u32 v1, v6, v1
	v_mul_lo_u32 v5, v1, s18
	v_sub_u32_e32 v5, v6, v5
	v_add_u32_e32 v8, 1, v1
	v_subrev_u32_e32 v9, s18, v5
	v_cmp_le_u32_e32 vcc, s18, v5
	s_nop 1
	v_cndmask_b32_e32 v5, v5, v9, vcc
	v_cndmask_b32_e32 v1, v1, v8, vcc
	v_add_u32_e32 v8, 1, v1
	v_cmp_le_u32_e32 vcc, s18, v5
	v_mov_b32_e32 v9, v4
	s_nop 0
	v_cndmask_b32_e32 v8, v1, v8, vcc
.LBB0_6:                                ;   in Loop: Header=BB0_2 Depth=1
	s_or_b64 exec, exec, s[2:3]
	v_mad_u64_u32 v[10:11], s[2:3], v8, s18, 0
	s_load_dwordx2 s[2:3], s[12:13], 0x0
	v_mul_lo_u32 v1, v9, s18
	v_mul_lo_u32 v5, v8, s19
	v_add3_u32 v1, v11, v5, v1
	v_sub_co_u32_e32 v5, vcc, v6, v10
	s_add_u32 s14, s14, 1
	s_nop 0
	v_subb_co_u32_e32 v1, vcc, v7, v1, vcc
	s_addc_u32 s15, s15, 0
	s_waitcnt lgkmcnt(0)
	v_mul_lo_u32 v1, s2, v1
	v_mul_lo_u32 v6, s3, v5
	v_mad_u64_u32 v[2:3], s[2:3], s2, v5, v[2:3]
	s_add_u32 s12, s12, 8
	v_add3_u32 v3, v6, v3, v1
	s_addc_u32 s13, s13, 0
	v_mov_b64_e32 v[6:7], s[10:11]
	s_add_u32 s16, s16, 8
	v_cmp_ge_u64_e32 vcc, s[14:15], v[6:7]
	s_addc_u32 s17, s17, 0
	s_cbranch_vccnz .LBB0_9
; %bb.7:                                ;   in Loop: Header=BB0_2 Depth=1
	v_mov_b64_e32 v[6:7], v[8:9]
	s_branch .LBB0_2
.LBB0_8:
	v_mov_b64_e32 v[8:9], v[6:7]
.LBB0_9:
	s_lshl_b64 s[2:3], s[10:11], 3
	s_add_u32 s2, s6, s2
	s_addc_u32 s3, s7, s3
	s_load_dwordx2 s[6:7], s[2:3], 0x0
	s_load_dwordx2 s[10:11], s[0:1], 0x20
	s_mov_b32 s2, 0x2d82d83
                                        ; implicit-def: $vgpr44
	s_waitcnt lgkmcnt(0)
	v_mul_lo_u32 v1, s6, v9
	v_mul_lo_u32 v4, s7, v8
	v_mad_u64_u32 v[2:3], s[0:1], s6, v8, v[2:3]
	v_add3_u32 v3, v4, v3, v1
	v_mul_hi_u32 v1, v0, s2
	v_mul_u32_u24_e32 v1, 0x5a, v1
	v_cmp_gt_u64_e64 s[0:1], s[10:11], v[8:9]
	v_cmp_le_u64_e32 vcc, s[10:11], v[8:9]
	v_sub_u32_e32 v40, v0, v1
	s_and_saveexec_b64 s[2:3], vcc
	s_xor_b64 s[2:3], exec, s[2:3]
; %bb.10:
	v_add_u32_e32 v44, 0x5a, v40
; %bb.11:
	s_or_saveexec_b64 s[2:3], s[2:3]
	v_lshl_add_u64 v[42:43], v[2:3], 3, s[4:5]
	v_lshl_add_u32 v70, v40, 3, 0
	s_xor_b64 exec, exec, s[2:3]
	s_cbranch_execz .LBB0_13
; %bb.12:
	v_mov_b32_e32 v41, 0
	v_lshl_add_u64 v[0:1], v[40:41], 3, v[42:43]
	s_movk_i32 s4, 0x1000
	v_add_co_u32_e32 v10, vcc, s4, v0
	global_load_dwordx2 v[2:3], v[0:1], off
	global_load_dwordx2 v[4:5], v[0:1], off offset:720
	global_load_dwordx2 v[6:7], v[0:1], off offset:1440
	;; [unrolled: 1-line block ×3, first 2 shown]
	v_addc_co_u32_e32 v11, vcc, 0, v1, vcc
	global_load_dwordx2 v[12:13], v[0:1], off offset:2880
	global_load_dwordx2 v[14:15], v[0:1], off offset:3600
	;; [unrolled: 1-line block ×8, first 2 shown]
	v_add_co_u32_e32 v0, vcc, 0x2000, v0
	v_add_u32_e32 v44, 0x5a, v40
	s_nop 0
	v_addc_co_u32_e32 v1, vcc, 0, v1, vcc
	global_load_dwordx2 v[10:11], v[0:1], off offset:448
	global_load_dwordx2 v[28:29], v[0:1], off offset:1168
	;; [unrolled: 1-line block ×4, first 2 shown]
	v_add_u32_e32 v0, 0x400, v70
	v_add_u32_e32 v1, 0x800, v70
	;; [unrolled: 1-line block ×7, first 2 shown]
	s_waitcnt vmcnt(14)
	ds_write2_b64 v70, v[2:3], v[4:5] offset1:90
	s_waitcnt vmcnt(12)
	ds_write2_b64 v0, v[6:7], v[8:9] offset0:52 offset1:142
	s_waitcnt vmcnt(10)
	ds_write2_b64 v1, v[12:13], v[14:15] offset0:104 offset1:194
	;; [unrolled: 2-line block ×7, first 2 shown]
.LBB0_13:
	s_or_b64 exec, exec, s[2:3]
	v_add_u32_e32 v4, 0x800, v70
	v_add_u32_e32 v41, 0x1000, v70
	;; [unrolled: 1-line block ×4, first 2 shown]
	s_waitcnt lgkmcnt(0)
	s_barrier
	ds_read2_b64 v[8:11], v4 offset0:32 offset1:122
	v_add_u32_e32 v45, 0xc00, v70
	ds_read2_b64 v[16:19], v41 offset0:64 offset1:154
	v_add_u32_e32 v74, 0x1400, v70
	ds_read2_b64 v[20:23], v71 offset0:96 offset1:186
	ds_read2_b64 v[28:31], v72 offset0:128 offset1:218
	v_add_u32_e32 v24, 0x1c00, v70
	v_add_u32_e32 v32, 0x2800, v70
	ds_read2_b64 v[4:7], v45 offset0:48 offset1:138
	ds_read2_b64 v[12:15], v74 offset0:80 offset1:170
	;; [unrolled: 1-line block ×5, first 2 shown]
	s_waitcnt lgkmcnt(7)
	v_pk_add_f32 v[36:37], v[16:17], v[8:9] neg_lo:[0,1] neg_hi:[0,1]
	s_waitcnt lgkmcnt(5)
	v_pk_add_f32 v[38:39], v[20:21], v[28:29] neg_lo:[0,1] neg_hi:[0,1]
	v_pk_add_f32 v[46:47], v[10:11], v[30:31] neg_lo:[0,1] neg_hi:[0,1]
	;; [unrolled: 1-line block ×3, first 2 shown]
	s_mov_b32 s2, 0x3f737871
	s_mov_b32 s4, 0x3f167918
	v_pk_add_f32 v[58:59], v[36:37], v[38:39]
	s_waitcnt lgkmcnt(2)
	v_pk_add_f32 v[60:61], v[12:13], v[24:25] neg_lo:[0,1] neg_hi:[0,1]
	s_waitcnt lgkmcnt(1)
	v_pk_add_f32 v[36:37], v[4:5], v[32:33]
	v_pk_add_f32 v[50:51], v[12:13], v[4:5] neg_lo:[0,1] neg_hi:[0,1]
	v_pk_add_f32 v[52:53], v[24:25], v[32:33] neg_lo:[0,1] neg_hi:[0,1]
	s_mov_b32 s6, 0x3f4f1bbd
	v_pk_add_f32 v[66:67], v[6:7], v[34:35] neg_lo:[0,1] neg_hi:[0,1]
	v_pk_add_f32 v[68:69], v[14:15], v[26:27] neg_lo:[0,1] neg_hi:[0,1]
	s_waitcnt lgkmcnt(0)
	v_pk_fma_f32 v[36:37], v[36:37], 0.5, v[0:1] op_sel_hi:[1,0,1] neg_lo:[1,0,0] neg_hi:[1,0,0]
	v_pk_mul_f32 v[38:39], v[60:61], s[2:3] op_sel_hi:[1,0]
	v_pk_add_f32 v[62:63], v[50:51], v[52:53]
	v_pk_mul_f32 v[54:55], v[46:47], s[4:5] op_sel_hi:[1,0]
	v_pk_mul_f32 v[56:57], v[68:69], s[4:5] op_sel_hi:[1,0]
	;; [unrolled: 1-line block ×4, first 2 shown]
	s_mov_b32 s5, s6
	v_pk_add_f32 v[76:77], v[4:5], v[32:33] neg_lo:[0,1] neg_hi:[0,1]
	v_pk_add_f32 v[64:65], v[36:37], v[38:39] op_sel:[0,1] op_sel_hi:[1,0] neg_lo:[0,1] neg_hi:[0,1]
	v_pk_add_f32 v[36:37], v[36:37], v[38:39] op_sel:[0,1] op_sel_hi:[1,0]
	v_pk_mul_f32 v[38:39], v[76:77], s[4:5] op_sel_hi:[1,0]
	s_mov_b32 s10, 0x3e9e377a
	v_pk_add_f32 v[78:79], v[36:37], v[38:39] op_sel:[0,1] op_sel_hi:[1,0] neg_lo:[0,1] neg_hi:[0,1]
	v_pk_add_f32 v[64:65], v[64:65], v[38:39] op_sel:[0,1] op_sel_hi:[1,0]
	v_mov_b32_e32 v37, v79
	v_mov_b32_e32 v36, v64
	v_pk_fma_f32 v[80:81], v[62:63], s[10:11], v[36:37] op_sel_hi:[1,0,1]
	ds_read2_b64 v[36:39], v70 offset1:90
	v_pk_mul_f32 v[82:83], v[80:81], s[2:3] op_sel_hi:[1,0]
	v_mov_b32_e32 v79, v65
	v_pk_fma_f32 v[84:85], v[80:81], s[10:11], v[82:83] op_sel:[0,0,1] op_sel_hi:[1,0,0]
	v_pk_fma_f32 v[80:81], v[80:81], s[10:11], v[82:83] op_sel:[0,0,1] op_sel_hi:[1,0,0] neg_lo:[0,0,1] neg_hi:[0,0,1]
	v_pk_add_f32 v[82:83], v[16:17], v[20:21] neg_lo:[0,1] neg_hi:[0,1]
	v_mov_b32_e32 v85, v81
	v_pk_add_f32 v[80:81], v[8:9], v[28:29]
	v_pk_mul_f32 v[86:87], v[82:83], s[2:3] op_sel_hi:[1,0]
	s_waitcnt lgkmcnt(0)
	v_pk_fma_f32 v[80:81], v[80:81], 0.5, v[36:37] op_sel_hi:[1,0,1] neg_lo:[1,0,0] neg_hi:[1,0,0]
	v_pk_fma_f32 v[62:63], v[62:63], s[10:11], v[78:79] op_sel_hi:[1,0,1]
	v_pk_add_f32 v[88:89], v[80:81], v[86:87] op_sel:[0,1] op_sel_hi:[1,0] neg_lo:[0,1] neg_hi:[0,1]
	v_pk_add_f32 v[80:81], v[80:81], v[86:87] op_sel:[0,1] op_sel_hi:[1,0]
	v_pk_add_f32 v[86:87], v[8:9], v[28:29] neg_lo:[0,1] neg_hi:[0,1]
	s_mov_b32 s12, 0xbf737871
	v_pk_mul_f32 v[90:91], v[86:87], s[4:5] op_sel_hi:[1,0]
	s_mov_b32 s13, s2
	v_pk_add_f32 v[80:81], v[80:81], v[90:91] op_sel:[0,1] op_sel_hi:[1,0] neg_lo:[0,1] neg_hi:[0,1]
	v_pk_add_f32 v[88:89], v[88:89], v[90:91] op_sel:[0,1] op_sel_hi:[1,0]
	v_pk_mul_f32 v[64:65], v[62:63], s[10:11] op_sel_hi:[1,0]
	s_movk_i32 s3, 0x48
	v_pk_fma_f32 v[62:63], v[62:63], s[12:13], v[64:65] op_sel:[0,0,1] op_sel_hi:[1,1,0] neg_lo:[0,0,1] neg_hi:[0,0,1]
	v_mov_b32_e32 v64, v88
	v_mov_b32_e32 v65, v81
	;; [unrolled: 1-line block ×3, first 2 shown]
	v_pk_fma_f32 v[64:65], v[58:59], s[10:11], v[64:65] op_sel_hi:[1,0,1]
	v_pk_fma_f32 v[58:59], v[58:59], s[10:11], v[80:81] op_sel_hi:[1,0,1]
	v_mad_u32_u24 v73, v40, s3, v70
	v_pk_add_f32 v[78:79], v[64:65], v[84:85]
	v_pk_add_f32 v[80:81], v[58:59], v[62:63] op_sel:[0,1] op_sel_hi:[1,0]
	s_barrier
	ds_write2_b64 v73, v[78:79], v[80:81] offset0:2 offset1:3
	v_pk_add_f32 v[78:79], v[8:9], v[16:17] neg_lo:[0,1] neg_hi:[0,1]
	v_pk_add_f32 v[80:81], v[28:29], v[20:21] neg_lo:[0,1] neg_hi:[0,1]
	v_pk_mul_f32 v[86:87], v[86:87], s[2:3] op_sel_hi:[1,0]
	v_pk_add_f32 v[78:79], v[78:79], v[80:81]
	v_pk_add_f32 v[80:81], v[16:17], v[20:21]
	v_pk_mul_f32 v[82:83], v[82:83], s[4:5] op_sel_hi:[1,0]
	v_pk_fma_f32 v[80:81], v[80:81], 0.5, v[36:37] op_sel_hi:[1,0,1] neg_lo:[1,0,0] neg_hi:[1,0,0]
	v_pk_mul_f32 v[76:77], v[76:77], s[2:3] op_sel_hi:[1,0]
	v_pk_add_f32 v[88:89], v[80:81], v[86:87] op_sel:[0,1] op_sel_hi:[1,0]
	v_pk_add_f32 v[80:81], v[80:81], v[86:87] op_sel:[0,1] op_sel_hi:[1,0] neg_lo:[0,1] neg_hi:[0,1]
	v_pk_add_f32 v[86:87], v[4:5], v[12:13] neg_lo:[0,1] neg_hi:[0,1]
	v_pk_add_f32 v[80:81], v[80:81], v[82:83] op_sel:[0,1] op_sel_hi:[1,0] neg_lo:[0,1] neg_hi:[0,1]
	v_pk_add_f32 v[82:83], v[88:89], v[82:83] op_sel:[0,1] op_sel_hi:[1,0]
	v_pk_add_f32 v[88:89], v[32:33], v[24:25] neg_lo:[0,1] neg_hi:[0,1]
	v_pk_mul_f32 v[60:61], v[60:61], s[4:5] op_sel_hi:[1,0]
	v_pk_add_f32 v[86:87], v[86:87], v[88:89]
	v_pk_add_f32 v[88:89], v[12:13], v[24:25]
	s_mov_b32 s7, s4
	v_pk_fma_f32 v[88:89], v[88:89], 0.5, v[0:1] op_sel_hi:[1,0,1] neg_lo:[1,0,0] neg_hi:[1,0,0]
	v_pk_add_f32 v[8:9], v[36:37], v[8:9]
	v_pk_add_f32 v[90:91], v[88:89], v[76:77] op_sel:[0,1] op_sel_hi:[1,0]
	v_pk_add_f32 v[76:77], v[88:89], v[76:77] op_sel:[0,1] op_sel_hi:[1,0] neg_lo:[0,1] neg_hi:[0,1]
	v_pk_add_f32 v[88:89], v[60:61], v[90:91] op_sel:[1,0] op_sel_hi:[0,1]
	v_pk_add_f32 v[60:61], v[76:77], v[60:61] op_sel:[0,1] op_sel_hi:[1,0] neg_lo:[0,1] neg_hi:[0,1]
	v_pk_fma_f32 v[76:77], v[86:87], s[10:11], v[88:89] op_sel_hi:[1,0,1]
	v_pk_add_f32 v[0:1], v[0:1], v[4:5]
	v_pk_mul_f32 v[76:77], v[76:77], s[6:7] op_sel_hi:[0,1]
	v_pk_fma_f32 v[90:91], v[86:87], s[10:11], v[60:61] op_sel_hi:[1,0,1]
	v_pk_add_f32 v[8:9], v[8:9], v[16:17]
	v_pk_add_f32 v[0:1], v[0:1], v[12:13]
	v_pk_fma_f32 v[92:93], v[90:91], s[4:5], v[76:77] op_sel:[1,0,0]
	v_pk_fma_f32 v[76:77], v[90:91], s[4:5], v[76:77] op_sel:[1,0,0] neg_lo:[0,0,1] neg_hi:[0,0,1]
	v_pk_add_f32 v[8:9], v[8:9], v[20:21]
	v_pk_add_f32 v[0:1], v[0:1], v[24:25]
	v_mov_b32_e32 v4, v82
	v_mov_b32_e32 v5, v81
	;; [unrolled: 1-line block ×3, first 2 shown]
	v_pk_add_f32 v[8:9], v[8:9], v[28:29]
	v_pk_add_f32 v[0:1], v[0:1], v[32:33]
	v_pk_fma_f32 v[4:5], v[78:79], s[10:11], v[4:5] op_sel_hi:[1,0,1]
	v_pk_add_f32 v[12:13], v[8:9], v[0:1]
	v_pk_add_f32 v[16:17], v[4:5], v[92:93]
	v_mov_b32_e32 v61, v89
	ds_write2_b64 v73, v[12:13], v[16:17] offset1:1
	v_pk_fma_f32 v[16:17], v[86:87], s[10:11], v[60:61] op_sel_hi:[1,0,1]
	v_mov_b32_e32 v81, v83
	s_mov_b32 s14, 0xbf167918
	s_mov_b32 s15, s4
	v_pk_mul_f32 v[20:21], v[16:17], s[6:7] op_sel_hi:[1,0]
	v_pk_fma_f32 v[12:13], v[78:79], s[10:11], v[80:81] op_sel_hi:[1,0,1]
	v_pk_fma_f32 v[16:17], v[16:17], s[14:15], v[20:21] op_sel:[0,0,1] op_sel_hi:[1,1,0] neg_lo:[0,0,1] neg_hi:[0,0,1]
	v_pk_add_f32 v[0:1], v[8:9], v[0:1] neg_lo:[0,1] neg_hi:[0,1]
	v_pk_add_f32 v[8:9], v[12:13], v[16:17] op_sel:[1,0] op_sel_hi:[0,1]
	v_mov_b32_e32 v20, v9
	v_mov_b32_e32 v21, v8
	ds_write2_b64 v73, v[20:21], v[0:1] offset0:4 offset1:5
	v_pk_add_f32 v[0:1], v[4:5], v[92:93] neg_lo:[0,1] neg_hi:[0,1]
	v_pk_add_f32 v[4:5], v[64:65], v[84:85] neg_lo:[0,1] neg_hi:[0,1]
	ds_write2_b64 v73, v[0:1], v[4:5] offset0:6 offset1:7
	v_pk_add_f32 v[4:5], v[12:13], v[16:17] op_sel:[1,0] op_sel_hi:[0,1] neg_lo:[0,1] neg_hi:[0,1]
	v_pk_add_f32 v[0:1], v[58:59], v[62:63] op_sel:[0,1] op_sel_hi:[1,0] neg_lo:[0,1] neg_hi:[0,1]
	v_mov_b32_e32 v8, v5
	v_mov_b32_e32 v9, v4
	ds_write2_b64 v73, v[0:1], v[8:9] offset0:8 offset1:9
	v_pk_add_f32 v[0:1], v[10:11], v[30:31]
	v_pk_mul_f32 v[4:5], v[48:49], s[2:3] op_sel_hi:[1,0]
	v_pk_fma_f32 v[0:1], v[0:1], 0.5, v[38:39] op_sel_hi:[1,0,1] neg_lo:[1,0,0] neg_hi:[1,0,0]
	v_pk_mul_f32 v[16:17], v[66:67], s[2:3] op_sel_hi:[1,0]
	v_pk_add_f32 v[8:9], v[0:1], v[4:5] op_sel:[0,1] op_sel_hi:[1,0]
	v_pk_add_f32 v[12:13], v[0:1], v[4:5] op_sel:[0,1] op_sel_hi:[1,0] neg_lo:[0,1] neg_hi:[0,1]
	v_pk_add_f32 v[0:1], v[8:9], v[54:55] op_sel:[0,1] op_sel_hi:[1,0] neg_lo:[0,1] neg_hi:[0,1]
	v_pk_add_f32 v[24:25], v[12:13], v[54:55] op_sel:[0,1] op_sel_hi:[1,0]
	v_pk_add_f32 v[4:5], v[22:23], v[30:31] neg_lo:[0,1] neg_hi:[0,1]
	v_mov_b32_e32 v25, v1
	v_pk_add_f32 v[0:1], v[18:19], v[10:11] neg_lo:[0,1] neg_hi:[0,1]
	v_pk_mul_f32 v[20:21], v[68:69], s[2:3] op_sel_hi:[1,0]
	v_pk_add_f32 v[48:49], v[0:1], v[4:5]
	v_pk_add_f32 v[0:1], v[6:7], v[14:15] neg_lo:[0,1] neg_hi:[0,1]
	v_pk_add_f32 v[4:5], v[34:35], v[26:27] neg_lo:[0,1] neg_hi:[0,1]
	v_pk_mul_f32 v[46:47], v[46:47], s[2:3] op_sel_hi:[1,0]
	v_pk_add_f32 v[58:59], v[0:1], v[4:5]
	v_pk_add_f32 v[0:1], v[14:15], v[26:27]
	v_pk_add_f32 v[60:61], v[30:31], v[22:23] neg_lo:[0,1] neg_hi:[0,1]
	v_pk_fma_f32 v[4:5], v[0:1], 0.5, v[2:3] op_sel_hi:[1,0,1] neg_lo:[1,0,0] neg_hi:[1,0,0]
	v_cmp_gt_u32_e32 vcc, 54, v40
	v_pk_add_f32 v[0:1], v[4:5], v[16:17] op_sel:[0,1] op_sel_hi:[1,0]
	v_pk_add_f32 v[4:5], v[4:5], v[16:17] op_sel:[0,1] op_sel_hi:[1,0] neg_lo:[0,1] neg_hi:[0,1]
	v_pk_add_f32 v[16:17], v[6:7], v[34:35]
	s_nop 0
	v_pk_fma_f32 v[16:17], v[16:17], 0.5, v[2:3] op_sel_hi:[1,0,1] neg_lo:[1,0,0] neg_hi:[1,0,0]
	s_nop 0
	v_pk_add_f32 v[32:33], v[16:17], v[20:21] op_sel:[0,1] op_sel_hi:[1,0]
	v_pk_add_f32 v[36:37], v[16:17], v[20:21] op_sel:[0,1] op_sel_hi:[1,0] neg_lo:[0,1] neg_hi:[0,1]
	v_pk_add_f32 v[16:17], v[32:33], v[52:53] op_sel:[0,1] op_sel_hi:[1,0] neg_lo:[0,1] neg_hi:[0,1]
	v_pk_add_f32 v[28:29], v[36:37], v[52:53] op_sel:[0,1] op_sel_hi:[1,0]
	v_pk_add_f32 v[20:21], v[26:27], v[34:35] neg_lo:[0,1] neg_hi:[0,1]
	v_mov_b32_e32 v29, v17
	v_pk_add_f32 v[16:17], v[14:15], v[6:7] neg_lo:[0,1] neg_hi:[0,1]
	s_nop 0
	v_pk_add_f32 v[62:63], v[16:17], v[20:21]
	v_pk_add_f32 v[16:17], v[18:19], v[22:23]
	v_pk_fma_f32 v[28:29], v[62:63], s[10:11], v[28:29] op_sel_hi:[1,0,1]
	v_pk_fma_f32 v[20:21], v[16:17], 0.5, v[38:39] op_sel_hi:[1,0,1] neg_lo:[1,0,0] neg_hi:[1,0,0]
	s_nop 0
	v_pk_add_f32 v[16:17], v[20:21], v[46:47] op_sel:[0,1] op_sel_hi:[1,0] neg_lo:[0,1] neg_hi:[0,1]
	v_pk_add_f32 v[20:21], v[20:21], v[46:47] op_sel:[0,1] op_sel_hi:[1,0]
	v_pk_add_f32 v[46:47], v[16:17], v[50:51] op_sel:[0,1] op_sel_hi:[1,0] neg_lo:[0,1] neg_hi:[0,1]
	v_pk_add_f32 v[68:69], v[20:21], v[50:51] op_sel:[0,1] op_sel_hi:[1,0]
	s_nop 0
	v_mov_b32_e32 v69, v47
	v_pk_add_f32 v[46:47], v[10:11], v[18:19] neg_lo:[0,1] neg_hi:[0,1]
	s_nop 0
	v_pk_add_f32 v[66:67], v[46:47], v[60:61]
	v_pk_add_f32 v[46:47], v[56:57], v[0:1] op_sel:[1,0] op_sel_hi:[0,1]
	v_pk_fma_f32 v[46:47], v[58:59], s[10:11], v[46:47] op_sel_hi:[1,0,1]
	v_pk_add_f32 v[60:61], v[4:5], v[56:57] op_sel:[0,1] op_sel_hi:[1,0] neg_lo:[0,1] neg_hi:[0,1]
	v_pk_mul_f32 v[46:47], v[46:47], s[6:7] op_sel_hi:[0,1]
	v_pk_fma_f32 v[60:61], v[58:59], s[10:11], v[60:61] op_sel_hi:[1,0,1]
	v_pk_fma_f32 v[68:69], v[66:67], s[10:11], v[68:69] op_sel_hi:[1,0,1]
	v_pk_fma_f32 v[76:77], v[60:61], s[4:5], v[46:47] neg_lo:[0,0,1] neg_hi:[0,0,1]
	v_pk_fma_f32 v[64:65], v[60:61], s[4:5], v[46:47] op_sel:[1,0,0]
	v_pk_mul_f32 v[46:47], v[28:29], s[2:3] op_sel_hi:[1,0]
	v_mov_b32_e32 v65, v77
	v_pk_fma_f32 v[60:61], v[28:29], s[10:11], v[46:47] op_sel:[0,0,1] op_sel_hi:[1,0,0] neg_lo:[0,0,1] neg_hi:[0,0,1]
	v_pk_fma_f32 v[46:47], v[28:29], s[10:11], v[46:47] op_sel:[0,0,1] op_sel_hi:[1,0,0]
	s_nop 0
	v_mov_b32_e32 v47, v61
	v_pk_fma_f32 v[60:61], v[48:49], s[10:11], v[24:25] op_sel_hi:[1,0,1]
	v_pk_add_f32 v[24:25], v[68:69], v[64:65] neg_lo:[0,1] neg_hi:[0,1]
	v_pk_add_f32 v[28:29], v[60:61], v[46:47] neg_lo:[0,1] neg_hi:[0,1]
	s_and_saveexec_b64 s[2:3], vcc
	s_cbranch_execz .LBB0_15
; %bb.14:
	v_pk_add_f32 v[10:11], v[38:39], v[10:11]
	v_pk_add_f32 v[2:3], v[2:3], v[6:7]
	;; [unrolled: 1-line block ×6, first 2 shown]
	v_mov_b32_e32 v76, v55
	v_mov_b32_e32 v77, v54
	;; [unrolled: 1-line block ×4, first 2 shown]
	v_pk_mul_f32 v[56:57], v[58:59], s[10:11] op_sel_hi:[1,0]
	v_mov_b32_e32 v58, v53
	v_mov_b32_e32 v59, v52
	v_pk_mul_f32 v[52:53], v[62:63], s[10:11] op_sel_hi:[1,0]
	v_mov_b32_e32 v62, v51
	v_mov_b32_e32 v63, v50
	v_pk_mul_f32 v[50:51], v[66:67], s[10:11] op_sel_hi:[1,0]
	v_mul_i32_i24_e32 v66, 10, v44
	v_pk_add_f32 v[10:11], v[10:11], v[30:31]
	v_pk_add_f32 v[2:3], v[2:3], v[34:35]
	v_lshl_add_u32 v66, v66, 3, 0
	v_pk_add_f32 v[6:7], v[10:11], v[2:3]
	v_pk_add_f32 v[14:15], v[68:69], v[64:65]
	ds_write2_b64 v66, v[6:7], v[14:15] offset1:1
	v_pk_add_f32 v[14:15], v[36:37], v[58:59]
	v_pk_add_f32 v[18:19], v[32:33], v[58:59] neg_lo:[0,1] neg_hi:[0,1]
	v_pk_add_f32 v[8:9], v[8:9], v[76:77] neg_lo:[0,1] neg_hi:[0,1]
	v_mov_b32_e32 v19, v15
	v_pk_add_f32 v[14:15], v[52:53], v[18:19]
	v_pk_add_f32 v[12:13], v[12:13], v[76:77]
	v_pk_mul_f32 v[48:49], v[48:49], s[10:11] op_sel_hi:[1,0]
	v_mov_b32_e32 v9, v13
	v_pk_mul_f32 v[12:13], v[14:15], s[10:11] op_sel_hi:[1,0]
	v_pk_add_f32 v[8:9], v[48:49], v[8:9]
	v_pk_fma_f32 v[12:13], v[14:15], s[12:13], v[12:13] op_sel:[0,0,1] op_sel_hi:[1,1,0] neg_lo:[0,0,1] neg_hi:[0,0,1]
	v_pk_add_f32 v[0:1], v[0:1], v[54:55]
	v_pk_add_f32 v[4:5], v[4:5], v[54:55] neg_lo:[0,1] neg_hi:[0,1]
	v_pk_add_f32 v[6:7], v[60:61], v[46:47]
	v_pk_add_f32 v[14:15], v[8:9], v[12:13] op_sel:[0,1] op_sel_hi:[1,0]
	v_mov_b32_e32 v5, v1
	ds_write2_b64 v66, v[6:7], v[14:15] offset0:2 offset1:3
	v_pk_add_f32 v[0:1], v[56:57], v[4:5]
	v_pk_add_f32 v[4:5], v[16:17], v[62:63] neg_lo:[0,1] neg_hi:[0,1]
	v_pk_add_f32 v[6:7], v[20:21], v[62:63]
	v_pk_add_f32 v[2:3], v[10:11], v[2:3] neg_lo:[0,1] neg_hi:[0,1]
	v_mov_b32_e32 v5, v7
	v_pk_mul_f32 v[6:7], v[0:1], s[6:7] op_sel_hi:[1,0]
	v_pk_add_f32 v[4:5], v[50:51], v[4:5]
	v_pk_fma_f32 v[0:1], v[0:1], s[14:15], v[6:7] op_sel:[0,0,1] op_sel_hi:[1,1,0] neg_lo:[0,0,1] neg_hi:[0,0,1]
	s_nop 0
	v_pk_add_f32 v[6:7], v[4:5], v[0:1] op_sel:[1,0] op_sel_hi:[0,1]
	v_mov_b32_e32 v10, v7
	v_mov_b32_e32 v11, v6
	v_pk_add_f32 v[0:1], v[4:5], v[0:1] op_sel:[1,0] op_sel_hi:[0,1] neg_lo:[0,1] neg_hi:[0,1]
	ds_write2_b64 v66, v[10:11], v[2:3] offset0:4 offset1:5
	ds_write2_b64 v66, v[24:25], v[28:29] offset0:6 offset1:7
	v_pk_add_f32 v[2:3], v[8:9], v[12:13] op_sel:[0,1] op_sel_hi:[1,0] neg_lo:[0,1] neg_hi:[0,1]
	v_mov_b32_e32 v4, v1
	v_mov_b32_e32 v5, v0
	ds_write2_b64 v66, v[2:3], v[4:5] offset0:8 offset1:9
.LBB0_15:
	s_or_b64 exec, exec, s[2:3]
	s_movk_i32 s2, 0xcd
	v_mul_lo_u16_sdwa v0, v40, s2 dst_sel:DWORD dst_unused:UNUSED_PAD src0_sel:BYTE_0 src1_sel:DWORD
	v_lshrrev_b16_e32 v47, 11, v0
	v_mul_lo_u16_e32 v0, 10, v47
	v_sub_u16_e32 v78, v40, v0
	v_mov_b32_e32 v0, 15
	v_mul_u32_u24_sdwa v0, v78, v0 dst_sel:DWORD dst_unused:UNUSED_PAD src0_sel:BYTE_0 src1_sel:DWORD
	v_lshlrev_b32_e32 v34, 3, v0
	s_waitcnt lgkmcnt(0)
	s_barrier
	global_load_dwordx4 v[0:3], v34, s[8:9]
	global_load_dwordx4 v[4:7], v34, s[8:9] offset:16
	global_load_dwordx4 v[8:11], v34, s[8:9] offset:32
	global_load_dwordx4 v[12:15], v34, s[8:9] offset:48
	global_load_dwordx4 v[16:19], v34, s[8:9] offset:64
	global_load_dwordx4 v[20:23], v34, s[8:9] offset:80
	global_load_dwordx4 v[30:33], v34, s[8:9] offset:96
	global_load_dwordx2 v[26:27], v34, s[8:9] offset:112
	s_movk_i32 s2, 0xffb8
	v_lshl_add_u32 v46, v44, 3, 0
	v_mad_i32_i24 v92, v40, s2, v73
	ds_read_b64 v[38:39], v70
	ds_read2_b64 v[34:37], v41 offset0:28 offset1:118
	ds_read2_b64 v[48:51], v74 offset0:80 offset1:170
	;; [unrolled: 1-line block ×4, first 2 shown]
	v_add_u32_e32 v89, 0x2400, v70
	ds_read_b64 v[68:69], v46
	v_add_u32_e32 v93, 0x400, v92
	v_add_u32_e32 v74, 0x800, v92
	ds_read2_b64 v[60:63], v89 offset0:108 offset1:198
	ds_read2_b64 v[64:67], v93 offset0:52 offset1:142
	ds_read2_b64 v[74:77], v74 offset0:104 offset1:194
	v_mul_u32_u24_e32 v47, 0xa0, v47
	v_or_b32_sdwa v47, v47, v78 dst_sel:DWORD dst_unused:UNUSED_PAD src0_sel:DWORD src1_sel:BYTE_0
	s_mov_b32 s2, 0x3f3504f3
	s_mov_b32 s4, 0x3f6c835e
	;; [unrolled: 1-line block ×3, first 2 shown]
	v_lshl_add_u32 v47, v47, 3, 0
	s_waitcnt lgkmcnt(0)
	s_barrier
	v_cmp_gt_u32_e32 vcc, 30, v40
	s_waitcnt vmcnt(7)
	v_pk_mul_f32 v[78:79], v[0:1], v[68:69] op_sel:[0,1]
	v_pk_mul_f32 v[80:81], v[2:3], v[64:65] op_sel:[0,1]
	s_waitcnt vmcnt(5)
	v_pk_mul_f32 v[86:87], v[76:77], v[8:9] op_sel:[0,1]
	v_mov_b32_e32 v88, v11
	v_pk_fma_f32 v[90:91], v[0:1], v[68:69], v[78:79] op_sel:[0,0,1] op_sel_hi:[1,1,0] neg_lo:[0,0,1] neg_hi:[0,0,1]
	v_pk_fma_f32 v[0:1], v[0:1], v[68:69], v[78:79] op_sel:[0,0,1] op_sel_hi:[1,0,0]
	v_pk_mul_f32 v[82:83], v[4:5], v[66:67] op_sel:[0,1]
	v_pk_mul_f32 v[84:85], v[6:7], v[74:75] op_sel:[0,1]
	v_pk_fma_f32 v[68:69], v[2:3], v[64:65], v[80:81] op_sel:[0,0,1] op_sel_hi:[1,1,0] neg_lo:[0,0,1] neg_hi:[0,0,1]
	v_pk_fma_f32 v[2:3], v[2:3], v[64:65], v[80:81] op_sel:[0,0,1] op_sel_hi:[1,0,0]
	s_waitcnt vmcnt(4)
	v_pk_mul_f32 v[64:65], v[36:37], v[12:13] op_sel:[0,1]
	v_mov_b32_e32 v0, v15
	v_pk_fma_f32 v[80:81], v[76:77], v[8:9], v[86:87] op_sel:[0,0,1] op_sel_hi:[1,1,0] neg_lo:[0,0,1] neg_hi:[0,0,1]
	v_pk_fma_f32 v[8:9], v[76:77], v[8:9], v[86:87] op_sel:[0,0,1] op_sel_hi:[1,0,0]
	v_pk_mul_f32 v[76:77], v[34:35], v[88:89] op_sel_hi:[1,0]
	v_pk_fma_f32 v[78:79], v[4:5], v[66:67], v[82:83] op_sel:[0,0,1] op_sel_hi:[1,1,0] neg_lo:[0,0,1] neg_hi:[0,0,1]
	v_pk_fma_f32 v[4:5], v[4:5], v[66:67], v[82:83] op_sel:[0,0,1] op_sel_hi:[1,0,0]
	v_pk_fma_f32 v[66:67], v[6:7], v[74:75], v[84:85] op_sel:[0,0,1] op_sel_hi:[1,1,0] neg_lo:[0,0,1] neg_hi:[0,0,1]
	v_pk_fma_f32 v[6:7], v[6:7], v[74:75], v[84:85] op_sel:[0,0,1] op_sel_hi:[1,0,0]
	;; [unrolled: 2-line block ×4, first 2 shown]
	v_pk_mul_f32 v[64:65], v[48:49], v[0:1] op_sel_hi:[1,0]
	s_waitcnt vmcnt(1)
	v_pk_mul_f32 v[36:37], v[58:59], v[30:31] op_sel:[0,1]
	v_mov_b32_e32 v67, v7
	v_mov_b32_e32 v81, v9
	v_pk_fma_f32 v[6:7], v[48:49], v[14:15], v[64:65] op_sel:[0,0,1] op_sel_hi:[1,1,0] neg_lo:[0,0,1] neg_hi:[0,0,1]
	v_pk_fma_f32 v[8:9], v[48:49], v[14:15], v[64:65] op_sel:[0,0,1] op_sel_hi:[1,0,0]
	v_pk_mul_f32 v[74:75], v[50:51], v[16:17] op_sel:[0,1]
	v_mov_b32_e32 v2, v19
	v_pk_mul_f32 v[34:35], v[54:55], v[20:21] op_sel:[0,1]
	v_mov_b32_e32 v4, v23
	v_mov_b32_e32 v7, v9
	v_pk_fma_f32 v[8:9], v[58:59], v[30:31], v[36:37] op_sel:[0,0,1] op_sel_hi:[1,0,0]
	v_mov_b32_e32 v91, v1
	v_pk_fma_f32 v[0:1], v[50:51], v[16:17], v[74:75] op_sel:[0,0,1] op_sel_hi:[1,1,0] neg_lo:[0,0,1] neg_hi:[0,0,1]
	v_pk_fma_f32 v[16:17], v[50:51], v[16:17], v[74:75] op_sel:[0,0,1] op_sel_hi:[1,0,0]
	v_pk_mul_f32 v[50:51], v[52:53], v[2:3] op_sel_hi:[1,0]
	v_mov_b32_e32 v69, v3
	v_pk_fma_f32 v[2:3], v[54:55], v[20:21], v[34:35] op_sel:[0,0,1] op_sel_hi:[1,1,0] neg_lo:[0,0,1] neg_hi:[0,0,1]
	v_pk_fma_f32 v[20:21], v[54:55], v[20:21], v[34:35] op_sel:[0,0,1] op_sel_hi:[1,0,0]
	v_pk_mul_f32 v[34:35], v[56:57], v[4:5] op_sel_hi:[1,0]
	v_mov_b32_e32 v79, v5
	v_pk_fma_f32 v[4:5], v[58:59], v[30:31], v[36:37] op_sel:[0,0,1] op_sel_hi:[1,1,0] neg_lo:[0,0,1] neg_hi:[0,0,1]
	v_mov_b32_e32 v8, v33
	v_mov_b32_e32 v5, v9
	v_pk_mul_f32 v[8:9], v[60:61], v[8:9] op_sel_hi:[1,0]
	v_mov_b32_e32 v83, v11
	v_pk_fma_f32 v[10:11], v[60:61], v[32:33], v[8:9] op_sel:[0,0,1] op_sel_hi:[1,1,0] neg_lo:[0,0,1] neg_hi:[0,0,1]
	v_pk_fma_f32 v[8:9], v[60:61], v[32:33], v[8:9] op_sel:[0,0,1] op_sel_hi:[1,0,0]
	v_mov_b32_e32 v77, v13
	v_pk_fma_f32 v[12:13], v[52:53], v[18:19], v[50:51] op_sel:[0,0,1] op_sel_hi:[1,1,0] neg_lo:[0,0,1] neg_hi:[0,0,1]
	v_pk_fma_f32 v[14:15], v[52:53], v[18:19], v[50:51] op_sel:[0,0,1] op_sel_hi:[1,0,0]
	v_mov_b32_e32 v11, v9
	s_waitcnt vmcnt(0)
	v_pk_mul_f32 v[8:9], v[62:63], v[26:27] op_sel:[0,1]
	v_mov_b32_e32 v1, v17
	v_pk_fma_f32 v[16:17], v[56:57], v[22:23], v[34:35] op_sel:[0,0,1] op_sel_hi:[1,1,0] neg_lo:[0,0,1] neg_hi:[0,0,1]
	v_pk_fma_f32 v[18:19], v[56:57], v[22:23], v[34:35] op_sel:[0,0,1] op_sel_hi:[1,0,0]
	v_mov_b32_e32 v13, v15
	v_pk_fma_f32 v[14:15], v[62:63], v[26:27], v[8:9] op_sel:[0,0,1] op_sel_hi:[1,1,0] neg_lo:[0,0,1] neg_hi:[0,0,1]
	v_pk_fma_f32 v[8:9], v[62:63], v[26:27], v[8:9] op_sel:[0,0,1] op_sel_hi:[1,0,0]
	v_mov_b32_e32 v3, v21
	v_mov_b32_e32 v17, v19
	v_mov_b32_e32 v15, v9
	v_pk_add_f32 v[6:7], v[38:39], v[6:7] neg_lo:[0,1] neg_hi:[0,1]
	v_pk_add_f32 v[16:17], v[66:67], v[16:17] neg_lo:[0,1] neg_hi:[0,1]
	v_pk_add_f32 v[12:13], v[68:69], v[12:13] neg_lo:[0,1] neg_hi:[0,1]
	v_pk_add_f32 v[10:11], v[82:83], v[10:11] neg_lo:[0,1] neg_hi:[0,1]
	v_pk_add_f32 v[0:1], v[90:91], v[0:1] neg_lo:[0,1] neg_hi:[0,1]
	v_pk_add_f32 v[4:5], v[80:81], v[4:5] neg_lo:[0,1] neg_hi:[0,1]
	v_pk_add_f32 v[2:3], v[78:79], v[2:3] neg_lo:[0,1] neg_hi:[0,1]
	v_pk_add_f32 v[14:15], v[76:77], v[14:15] neg_lo:[0,1] neg_hi:[0,1]
	v_pk_fma_f32 v[8:9], v[38:39], 2.0, v[6:7] op_sel_hi:[1,0,1] neg_lo:[0,0,1] neg_hi:[0,0,1]
	v_pk_fma_f32 v[18:19], v[66:67], 2.0, v[16:17] op_sel_hi:[1,0,1] neg_lo:[0,0,1] neg_hi:[0,0,1]
	;; [unrolled: 1-line block ×8, first 2 shown]
	v_pk_add_f32 v[18:19], v[8:9], v[18:19] neg_lo:[0,1] neg_hi:[0,1]
	v_pk_add_f32 v[22:23], v[20:21], v[22:23] neg_lo:[0,1] neg_hi:[0,1]
	;; [unrolled: 1-line block ×4, first 2 shown]
	v_pk_fma_f32 v[8:9], v[8:9], 2.0, v[18:19] op_sel_hi:[1,0,1] neg_lo:[0,0,1] neg_hi:[0,0,1]
	v_pk_fma_f32 v[20:21], v[20:21], 2.0, v[22:23] op_sel_hi:[1,0,1] neg_lo:[0,0,1] neg_hi:[0,0,1]
	;; [unrolled: 1-line block ×4, first 2 shown]
	v_pk_add_f32 v[20:21], v[8:9], v[20:21] neg_lo:[0,1] neg_hi:[0,1]
	v_pk_add_f32 v[32:33], v[26:27], v[32:33] neg_lo:[0,1] neg_hi:[0,1]
	v_pk_fma_f32 v[8:9], v[8:9], 2.0, v[20:21] op_sel_hi:[1,0,1] neg_lo:[0,0,1] neg_hi:[0,0,1]
	v_pk_fma_f32 v[26:27], v[26:27], 2.0, v[32:33] op_sel_hi:[1,0,1] neg_lo:[0,0,1] neg_hi:[0,0,1]
	v_pk_add_f32 v[36:37], v[12:13], v[10:11] op_sel:[0,1] op_sel_hi:[1,0] neg_lo:[0,1] neg_hi:[0,1]
	v_pk_add_f32 v[10:11], v[12:13], v[10:11] op_sel:[0,1] op_sel_hi:[1,0]
	v_pk_add_f32 v[38:39], v[8:9], v[26:27] neg_lo:[0,1] neg_hi:[0,1]
	v_pk_add_f32 v[26:27], v[6:7], v[16:17] op_sel:[0,1] op_sel_hi:[1,0] neg_lo:[0,1] neg_hi:[0,1]
	v_pk_add_f32 v[16:17], v[6:7], v[16:17] op_sel:[0,1] op_sel_hi:[1,0]
	v_mov_b32_e32 v37, v11
	v_mov_b32_e32 v27, v17
	v_pk_fma_f32 v[10:11], v[12:13], 2.0, v[36:37] op_sel_hi:[1,0,1] neg_lo:[0,0,1] neg_hi:[0,0,1]
	v_pk_add_f32 v[12:13], v[0:1], v[4:5] op_sel:[0,1] op_sel_hi:[1,0] neg_lo:[0,1] neg_hi:[0,1]
	v_pk_add_f32 v[4:5], v[0:1], v[4:5] op_sel:[0,1] op_sel_hi:[1,0]
	v_pk_add_f32 v[48:49], v[2:3], v[14:15] op_sel:[0,1] op_sel_hi:[1,0] neg_lo:[0,1] neg_hi:[0,1]
	v_pk_add_f32 v[14:15], v[2:3], v[14:15] op_sel:[0,1] op_sel_hi:[1,0]
	v_pk_fma_f32 v[6:7], v[6:7], 2.0, v[26:27] op_sel_hi:[1,0,1] neg_lo:[0,0,1] neg_hi:[0,0,1]
	v_mov_b32_e32 v13, v5
	v_mov_b32_e32 v49, v15
	v_pk_fma_f32 v[0:1], v[0:1], 2.0, v[12:13] op_sel_hi:[1,0,1] neg_lo:[0,0,1] neg_hi:[0,0,1]
	v_pk_fma_f32 v[2:3], v[2:3], 2.0, v[48:49] op_sel_hi:[1,0,1] neg_lo:[0,0,1] neg_hi:[0,0,1]
	v_pk_mul_f32 v[14:15], v[10:11], s[2:3] op_sel_hi:[1,0]
	v_pk_fma_f32 v[10:11], v[10:11], s[2:3], v[6:7] op_sel_hi:[1,0,1] neg_lo:[1,0,0] neg_hi:[1,0,0]
	v_pk_fma_f32 v[8:9], v[8:9], 2.0, v[38:39] op_sel_hi:[1,0,1] neg_lo:[0,0,1] neg_hi:[0,0,1]
	v_pk_add_f32 v[50:51], v[10:11], v[14:15] op_sel:[0,1] op_sel_hi:[1,0] neg_lo:[0,1] neg_hi:[0,1]
	v_pk_add_f32 v[10:11], v[10:11], v[14:15] op_sel:[0,1] op_sel_hi:[1,0]
	v_pk_mul_f32 v[14:15], v[2:3], s[2:3] op_sel_hi:[1,0]
	v_pk_fma_f32 v[2:3], v[2:3], s[2:3], v[0:1] op_sel_hi:[1,0,1] neg_lo:[1,0,0] neg_hi:[1,0,0]
	v_mov_b32_e32 v51, v11
	v_pk_add_f32 v[52:53], v[2:3], v[14:15] op_sel:[0,1] op_sel_hi:[1,0] neg_lo:[0,1] neg_hi:[0,1]
	v_pk_add_f32 v[2:3], v[2:3], v[14:15] op_sel:[0,1] op_sel_hi:[1,0]
	v_pk_fma_f32 v[6:7], v[6:7], 2.0, v[50:51] op_sel_hi:[1,0,1] neg_lo:[0,0,1] neg_hi:[0,0,1]
	v_mov_b32_e32 v53, v3
	v_pk_fma_f32 v[0:1], v[0:1], 2.0, v[52:53] op_sel_hi:[1,0,1] neg_lo:[0,0,1] neg_hi:[0,0,1]
	s_nop 0
	v_pk_fma_f32 v[14:15], v[0:1], s[4:5], v[6:7] op_sel_hi:[1,0,1] neg_lo:[1,0,0] neg_hi:[1,0,0]
	v_pk_mul_f32 v[0:1], v[0:1], s[6:7] op_sel_hi:[1,0]
	s_nop 0
	v_pk_add_f32 v[54:55], v[14:15], v[0:1] op_sel:[0,1] op_sel_hi:[1,0] neg_lo:[0,1] neg_hi:[0,1]
	v_pk_add_f32 v[0:1], v[14:15], v[0:1] op_sel:[0,1] op_sel_hi:[1,0]
	v_pk_fma_f32 v[14:15], v[36:37], s[2:3], v[26:27] op_sel_hi:[1,0,1]
	v_mov_b32_e32 v55, v1
	v_pk_fma_f32 v[0:1], v[6:7], 2.0, v[54:55] op_sel_hi:[1,0,1] neg_lo:[0,0,1] neg_hi:[0,0,1]
	v_fmamk_f32 v7, v3, 0x3ec3ef15, v11
	v_fmamk_f32 v6, v52, 0x3ec3ef15, v50
	v_fmac_f32_e32 v7, 0x3f6c835e, v52
	v_fmac_f32_e32 v6, 0xbf6c835e, v3
	v_fma_f32 v3, v11, 2.0, -v7
	v_pk_mul_f32 v[10:11], v[36:37], s[2:3] op_sel_hi:[1,0]
	v_fma_f32 v2, v50, 2.0, -v6
	v_pk_add_f32 v[50:51], v[14:15], v[10:11] op_sel:[0,1] op_sel_hi:[1,0] neg_lo:[0,1] neg_hi:[0,1]
	v_pk_add_f32 v[10:11], v[14:15], v[10:11] op_sel:[0,1] op_sel_hi:[1,0]
	v_pk_fma_f32 v[14:15], v[48:49], s[2:3], v[12:13] op_sel_hi:[1,0,1]
	v_mov_b32_e32 v51, v11
	v_fma_f32 v27, v17, 2.0, -v11
	v_pk_mul_f32 v[10:11], v[48:49], s[2:3] op_sel_hi:[1,0]
	v_fma_f32 v26, v26, 2.0, -v50
	v_pk_add_f32 v[16:17], v[14:15], v[10:11] op_sel:[0,1] op_sel_hi:[1,0] neg_lo:[0,1] neg_hi:[0,1]
	v_pk_add_f32 v[10:11], v[14:15], v[10:11] op_sel:[0,1] op_sel_hi:[1,0]
	ds_write2_b64 v47, v[8:9], v[0:1] offset1:10
	v_mov_b32_e32 v17, v11
	v_fma_f32 v10, v12, 2.0, -v16
	v_fma_f32 v11, v5, 2.0, -v11
	v_fmamk_f32 v4, v10, 0xbec3ef15, v26
	v_fmamk_f32 v5, v11, 0xbec3ef15, v27
	v_fmac_f32_e32 v4, 0xbf6c835e, v11
	v_fmac_f32_e32 v5, 0x3f6c835e, v10
	v_pk_fma_f32 v[12:13], v[16:17], s[4:5], v[50:51] op_sel_hi:[1,0,1]
	v_pk_mul_f32 v[14:15], v[16:17], s[6:7] op_sel_hi:[1,0]
	v_fma_f32 v10, v26, 2.0, -v4
	v_fma_f32 v11, v27, 2.0, -v5
	v_pk_add_f32 v[26:27], v[12:13], v[14:15] op_sel:[0,1] op_sel_hi:[1,0] neg_lo:[0,1] neg_hi:[0,1]
	v_pk_add_f32 v[36:37], v[12:13], v[14:15] op_sel:[0,1] op_sel_hi:[1,0]
	v_pk_add_f32 v[0:1], v[18:19], v[22:23] op_sel:[0,1] op_sel_hi:[1,0] neg_lo:[0,1] neg_hi:[0,1]
	v_pk_add_f32 v[8:9], v[18:19], v[22:23] op_sel:[0,1] op_sel_hi:[1,0]
	;; [unrolled: 2-line block ×3, first 2 shown]
	v_mov_b32_e32 v1, v9
	v_mov_b32_e32 v13, v15
	v_pk_fma_f32 v[8:9], v[18:19], 2.0, v[0:1] op_sel_hi:[1,0,1] neg_lo:[0,0,1] neg_hi:[0,0,1]
	v_pk_fma_f32 v[14:15], v[30:31], 2.0, v[12:13] op_sel_hi:[1,0,1] neg_lo:[0,0,1] neg_hi:[0,0,1]
	v_mov_b32_e32 v27, v37
	v_pk_mul_f32 v[16:17], v[14:15], s[2:3] op_sel_hi:[1,0]
	v_pk_fma_f32 v[14:15], v[14:15], s[2:3], v[8:9] op_sel_hi:[1,0,1] neg_lo:[1,0,0] neg_hi:[1,0,0]
	s_nop 0
	v_pk_add_f32 v[18:19], v[14:15], v[16:17] op_sel:[0,1] op_sel_hi:[1,0] neg_lo:[0,1] neg_hi:[0,1]
	v_pk_add_f32 v[14:15], v[14:15], v[16:17] op_sel:[0,1] op_sel_hi:[1,0]
	s_nop 0
	v_mov_b32_e32 v19, v15
	v_pk_fma_f32 v[8:9], v[8:9], 2.0, v[18:19] op_sel_hi:[1,0,1] neg_lo:[0,0,1] neg_hi:[0,0,1]
	ds_write2_b64 v47, v[8:9], v[10:11] offset0:20 offset1:30
	v_pk_add_f32 v[8:9], v[20:21], v[32:33] op_sel:[0,1] op_sel_hi:[1,0] neg_lo:[0,1] neg_hi:[0,1]
	v_pk_add_f32 v[10:11], v[20:21], v[32:33] op_sel:[0,1] op_sel_hi:[1,0]
	s_nop 0
	v_mov_b32_e32 v9, v11
	v_pk_fma_f32 v[10:11], v[20:21], 2.0, v[8:9] op_sel_hi:[1,0,1] neg_lo:[0,0,1] neg_hi:[0,0,1]
	ds_write2_b64 v47, v[10:11], v[2:3] offset0:40 offset1:50
	v_pk_mul_f32 v[2:3], v[12:13], s[2:3] op_sel_hi:[1,0]
	v_pk_fma_f32 v[10:11], v[12:13], s[2:3], v[0:1] op_sel_hi:[1,0,1]
	v_cmp_lt_u32_e64 s[2:3], 29, v40
	v_pk_add_f32 v[12:13], v[10:11], v[2:3] op_sel:[0,1] op_sel_hi:[1,0] neg_lo:[0,1] neg_hi:[0,1]
	v_pk_add_f32 v[2:3], v[10:11], v[2:3] op_sel:[0,1] op_sel_hi:[1,0]
	s_nop 0
	v_mov_b32_e32 v13, v3
	v_pk_fma_f32 v[0:1], v[0:1], 2.0, v[12:13] op_sel_hi:[1,0,1] neg_lo:[0,0,1] neg_hi:[0,0,1]
	v_pk_fma_f32 v[2:3], v[50:51], 2.0, v[26:27] op_sel_hi:[1,0,1] neg_lo:[0,0,1] neg_hi:[0,0,1]
	ds_write2_b64 v47, v[0:1], v[2:3] offset0:60 offset1:70
	ds_write2_b64 v47, v[38:39], v[54:55] offset0:80 offset1:90
	;; [unrolled: 1-line block ×5, first 2 shown]
	s_waitcnt lgkmcnt(0)
	s_barrier
	ds_read2_b64 v[12:15], v45 offset0:96 offset1:186
	ds_read2_b64 v[0:3], v71 offset0:72 offset1:192
	ds_read_b64 v[34:35], v46
	ds_read2_b64 v[16:19], v72 offset0:26 offset1:116
	ds_read2_b64 v[8:11], v93 offset0:52 offset1:142
	;; [unrolled: 1-line block ×4, first 2 shown]
	ds_read_b64 v[38:39], v70
	ds_read_b64 v[32:33], v92 offset:2880
	v_mul_i32_i24_e32 v27, 0xffffffb8, v40
	v_add_u32_e32 v47, v73, v27
	s_and_saveexec_b64 s[4:5], vcc
	s_cbranch_execz .LBB0_17
; %bb.16:
	ds_read_b64 v[26:27], v47 offset:3600
	ds_read_b64 v[24:25], v70 offset:7440
	;; [unrolled: 1-line block ×3, first 2 shown]
	s_waitcnt lgkmcnt(2)
	v_mov_b32_e32 v37, v27
.LBB0_17:
	s_or_b64 exec, exec, s[4:5]
	v_add_u32_e32 v45, 0x10e, v40
	s_mov_b32 s6, 0xcccd
	v_mul_u32_u24_sdwa v27, v45, s6 dst_sel:DWORD dst_unused:UNUSED_PAD src0_sel:WORD_0 src1_sel:DWORD
	v_lshrrev_b32_e32 v71, 23, v27
	v_add_u32_e32 v41, 0x1c2, v40
	v_mul_lo_u16_e32 v27, 0xa0, v71
	v_lshlrev_b32_e32 v48, 1, v40
	v_mov_b32_e32 v49, 0
	v_sub_u16_e32 v76, v45, v27
	v_mul_u32_u24_sdwa v27, v41, s6 dst_sel:DWORD dst_unused:UNUSED_PAD src0_sel:WORD_0 src1_sel:DWORD
	v_lshl_add_u64 v[30:31], v[48:49], 3, s[8:9]
	v_lshrrev_b32_e32 v27, 23, v27
	global_load_dwordx4 v[50:53], v[30:31], off offset:1200
	v_mul_lo_u16_e32 v27, 0xa0, v27
	v_sub_u16_e32 v36, v41, v27
	v_lshlrev_b32_e32 v27, 4, v36
	global_load_dwordx4 v[54:57], v27, s[8:9] offset:1200
	v_add_u32_e32 v48, 40, v48
	v_lshlrev_b32_e32 v27, 4, v76
	v_lshl_add_u64 v[62:63], v[48:49], 3, s[8:9]
	s_movk_i32 s4, 0x46
	global_load_dwordx4 v[58:61], v27, s[8:9] offset:1200
	v_cmp_gt_u32_e64 s[4:5], s4, v40
	global_load_dwordx4 v[62:65], v[62:63], off offset:1200
	v_add_u32_e32 v27, 0xffffffba, v40
	v_cndmask_b32_e64 v77, v27, v44, s[4:5]
	v_lshlrev_b32_e32 v48, 1, v77
	v_lshl_add_u64 v[48:49], v[48:49], 3, s[8:9]
	global_load_dwordx4 v[66:69], v[48:49], off offset:1200
	v_add_u32_e32 v48, 0x168, v40
	v_mul_u32_u24_sdwa v27, v48, s6 dst_sel:DWORD dst_unused:UNUSED_PAD src0_sel:WORD_0 src1_sel:DWORD
	v_lshrrev_b32_e32 v27, 23, v27
	v_mul_lo_u16_e32 v27, 0xa0, v27
	v_sub_u16_e32 v49, v48, v27
	v_lshlrev_b32_e32 v27, 4, v49
	global_load_dwordx4 v[72:75], v27, s[8:9] offset:1200
	s_movk_i32 s4, 0x45
	v_mov_b32_e32 v27, v37
	v_mov_b32_e32 v37, 0xf00
	v_cmp_lt_u32_e64 s[4:5], s4, v40
	v_lshlrev_b32_e32 v77, 3, v77
	v_mul_u32_u24_e32 v71, 0xf00, v71
	v_cndmask_b32_e64 v37, 0, v37, s[4:5]
	v_lshlrev_b32_e32 v76, 3, v76
	v_add3_u32 v37, 0, v37, v77
	v_add3_u32 v71, 0, v71, v76
	s_mov_b32 s6, 0x3f5db3d7
	s_waitcnt lgkmcnt(0)
	s_barrier
	s_waitcnt vmcnt(5)
	v_pk_mul_f32 v[76:77], v[50:51], v[12:13] op_sel:[0,1]
	v_pk_mul_f32 v[78:79], v[52:53], v[2:3] op_sel:[0,1]
	v_pk_fma_f32 v[80:81], v[50:51], v[12:13], v[76:77] op_sel:[0,0,1] op_sel_hi:[1,1,0] neg_lo:[0,0,1] neg_hi:[0,0,1]
	v_pk_fma_f32 v[12:13], v[50:51], v[12:13], v[76:77] op_sel:[0,0,1] op_sel_hi:[1,0,0]
	v_pk_fma_f32 v[50:51], v[52:53], v[2:3], v[78:79] op_sel:[0,0,1] op_sel_hi:[1,1,0] neg_lo:[0,0,1] neg_hi:[0,0,1]
	v_pk_fma_f32 v[2:3], v[52:53], v[2:3], v[78:79] op_sel:[0,0,1] op_sel_hi:[1,0,0]
	v_mov_b32_e32 v81, v13
	v_mov_b32_e32 v51, v3
	v_pk_add_f32 v[12:13], v[80:81], v[50:51]
	v_pk_add_f32 v[52:53], v[80:81], v[50:51] neg_lo:[0,1] neg_hi:[0,1]
	s_waitcnt vmcnt(4)
	v_pk_mul_f32 v[76:77], v[24:25], v[54:55] op_sel:[1,0]
	v_pk_mul_f32 v[78:79], v[28:29], v[56:57] op_sel:[1,0]
	v_pk_add_f32 v[2:3], v[38:39], v[80:81]
	v_pk_fma_f32 v[12:13], v[12:13], 0.5, v[38:39] op_sel_hi:[1,0,1] neg_lo:[1,0,0] neg_hi:[1,0,0]
	v_pk_mul_f32 v[38:39], v[52:53], s[6:7] op_sel_hi:[1,0]
	v_pk_fma_f32 v[52:53], v[24:25], v[54:55], v[76:77] op_sel:[0,0,1] op_sel_hi:[1,1,0] neg_lo:[0,0,1] neg_hi:[0,0,1]
	v_pk_fma_f32 v[24:25], v[24:25], v[54:55], v[76:77] op_sel:[0,0,1] op_sel_hi:[0,1,0]
	v_pk_fma_f32 v[54:55], v[28:29], v[56:57], v[78:79] op_sel:[0,0,1] op_sel_hi:[1,1,0] neg_lo:[0,0,1] neg_hi:[0,0,1]
	v_pk_fma_f32 v[28:29], v[28:29], v[56:57], v[78:79] op_sel:[0,0,1] op_sel_hi:[0,1,0]
	v_mov_b32_e32 v53, v25
	v_mov_b32_e32 v55, v29
	v_pk_add_f32 v[76:77], v[12:13], v[38:39] op_sel:[0,1] op_sel_hi:[1,0]
	v_pk_add_f32 v[12:13], v[12:13], v[38:39] op_sel:[0,1] op_sel_hi:[1,0] neg_lo:[0,1] neg_hi:[0,1]
	v_pk_add_f32 v[28:29], v[52:53], v[54:55]
	v_pk_add_f32 v[38:39], v[52:53], v[54:55] neg_lo:[0,1] neg_hi:[0,1]
	v_pk_add_f32 v[2:3], v[2:3], v[50:51]
	s_waitcnt vmcnt(2)
	v_pk_mul_f32 v[50:51], v[62:63], v[20:21] op_sel:[0,1]
	v_pk_fma_f32 v[28:29], v[28:29], 0.5, v[26:27] op_sel_hi:[1,0,1] neg_lo:[1,0,0] neg_hi:[1,0,0]
	v_pk_mul_f32 v[38:39], v[38:39], s[6:7] op_sel_hi:[1,0]
	v_pk_add_f32 v[24:25], v[26:27], v[52:53]
	v_pk_add_f32 v[26:27], v[28:29], v[38:39] op_sel:[0,1] op_sel_hi:[1,0] neg_lo:[0,1] neg_hi:[0,1]
	v_pk_add_f32 v[28:29], v[38:39], v[28:29] op_sel:[1,0] op_sel_hi:[0,1]
	v_pk_fma_f32 v[38:39], v[62:63], v[20:21], v[50:51] op_sel:[0,0,1] op_sel_hi:[1,1,0] neg_lo:[0,0,1] neg_hi:[0,0,1]
	v_pk_fma_f32 v[20:21], v[62:63], v[20:21], v[50:51] op_sel:[0,0,1] op_sel_hi:[1,0,0]
	v_pk_mul_f32 v[80:81], v[58:59], v[22:23] op_sel:[0,1]
	v_mov_b32_e32 v39, v21
	v_pk_mul_f32 v[20:21], v[64:65], v[18:19] op_sel:[0,1]
	v_mov_b32_e32 v82, v61
	v_pk_fma_f32 v[50:51], v[64:65], v[18:19], v[20:21] op_sel:[0,0,1] op_sel_hi:[1,1,0] neg_lo:[0,0,1] neg_hi:[0,0,1]
	v_pk_fma_f32 v[18:19], v[64:65], v[18:19], v[20:21] op_sel:[0,0,1] op_sel_hi:[1,0,0]
	s_waitcnt vmcnt(1)
	v_pk_mul_f32 v[20:21], v[66:67], v[14:15] op_sel:[0,1]
	v_mov_b32_e32 v51, v19
	v_pk_fma_f32 v[52:53], v[66:67], v[14:15], v[20:21] op_sel:[0,0,1] op_sel_hi:[1,1,0] neg_lo:[0,0,1] neg_hi:[0,0,1]
	v_pk_fma_f32 v[14:15], v[66:67], v[14:15], v[20:21] op_sel:[0,0,1] op_sel_hi:[1,0,0]
	v_pk_add_f32 v[18:19], v[8:9], v[38:39]
	v_mov_b32_e32 v53, v15
	v_pk_mul_f32 v[14:15], v[68:69], v[16:17] op_sel:[0,1]
	v_pk_fma_f32 v[56:57], v[58:59], v[22:23], v[80:81] op_sel:[0,0,1] op_sel_hi:[1,1,0] neg_lo:[0,0,1] neg_hi:[0,0,1]
	v_pk_fma_f32 v[20:21], v[68:69], v[16:17], v[14:15] op_sel:[0,0,1] op_sel_hi:[1,1,0] neg_lo:[0,0,1] neg_hi:[0,0,1]
	v_pk_fma_f32 v[14:15], v[68:69], v[16:17], v[14:15] op_sel:[0,0,1] op_sel_hi:[1,0,0]
	v_mov_b32_e32 v16, v76
	v_mov_b32_e32 v21, v15
	;; [unrolled: 1-line block ×4, first 2 shown]
	ds_write2_b64 v70, v[2:3], v[16:17] offset1:160
	ds_write_b64 v70, v[12:13] offset:2560
	v_pk_add_f32 v[2:3], v[52:53], v[20:21]
	v_pk_add_f32 v[12:13], v[52:53], v[20:21] neg_lo:[0,1] neg_hi:[0,1]
	v_pk_fma_f32 v[2:3], v[2:3], 0.5, v[34:35] op_sel_hi:[1,0,1] neg_lo:[1,0,0] neg_hi:[1,0,0]
	v_pk_mul_f32 v[12:13], v[12:13], s[6:7] op_sel_hi:[1,0]
	v_pk_add_f32 v[14:15], v[34:35], v[52:53]
	v_pk_add_f32 v[16:17], v[2:3], v[12:13] op_sel:[0,1] op_sel_hi:[1,0]
	v_pk_add_f32 v[2:3], v[2:3], v[12:13] op_sel:[0,1] op_sel_hi:[1,0] neg_lo:[0,1] neg_hi:[0,1]
	v_pk_add_f32 v[14:15], v[14:15], v[20:21]
	v_mov_b32_e32 v13, v3
	v_mov_b32_e32 v3, v17
	ds_write_b64 v37, v[2:3] offset:2560
	v_pk_add_f32 v[2:3], v[38:39], v[50:51]
	v_mov_b32_e32 v12, v16
	v_pk_fma_f32 v[2:3], v[2:3], 0.5, v[8:9] op_sel_hi:[1,0,1] neg_lo:[1,0,0] neg_hi:[1,0,0]
	v_pk_add_f32 v[8:9], v[38:39], v[50:51] neg_lo:[0,1] neg_hi:[0,1]
	v_pk_fma_f32 v[22:23], v[58:59], v[22:23], v[80:81] op_sel:[0,0,1] op_sel_hi:[1,0,0]
	v_pk_mul_f32 v[8:9], v[8:9], s[6:7] op_sel_hi:[1,0]
	v_pk_mul_f32 v[58:59], v[4:5], v[82:83] op_sel_hi:[1,0]
	ds_write2_b64 v37, v[14:15], v[12:13] offset1:160
	v_pk_add_f32 v[12:13], v[2:3], v[8:9] op_sel:[0,1] op_sel_hi:[1,0]
	v_pk_add_f32 v[2:3], v[2:3], v[8:9] op_sel:[0,1] op_sel_hi:[1,0] neg_lo:[0,1] neg_hi:[0,1]
	v_mov_b32_e32 v57, v23
	v_pk_fma_f32 v[22:23], v[4:5], v[60:61], v[58:59] op_sel:[0,0,1] op_sel_hi:[1,1,0] neg_lo:[0,0,1] neg_hi:[0,0,1]
	v_pk_fma_f32 v[4:5], v[4:5], v[60:61], v[58:59] op_sel:[0,0,1] op_sel_hi:[1,0,0]
	v_pk_add_f32 v[18:19], v[18:19], v[50:51]
	v_mov_b32_e32 v8, v12
	v_mov_b32_e32 v9, v3
	v_add_u32_e32 v3, 0xe00, v70
	v_mov_b32_e32 v23, v5
	ds_write2_b64 v3, v[18:19], v[8:9] offset0:52 offset1:212
	v_mov_b32_e32 v3, v13
	ds_write_b64 v70, v[2:3] offset:6560
	v_pk_add_f32 v[2:3], v[56:57], v[22:23]
	v_pk_add_f32 v[8:9], v[56:57], v[22:23] neg_lo:[0,1] neg_hi:[0,1]
	v_pk_fma_f32 v[2:3], v[2:3], 0.5, v[10:11] op_sel_hi:[1,0,1] neg_lo:[1,0,0] neg_hi:[1,0,0]
	v_pk_mul_f32 v[8:9], v[8:9], s[6:7] op_sel_hi:[1,0]
	v_pk_add_f32 v[4:5], v[10:11], v[56:57]
	v_pk_add_f32 v[10:11], v[2:3], v[8:9] op_sel:[0,1] op_sel_hi:[1,0]
	v_pk_add_f32 v[2:3], v[2:3], v[8:9] op_sel:[0,1] op_sel_hi:[1,0] neg_lo:[0,1] neg_hi:[0,1]
	v_pk_add_f32 v[4:5], v[4:5], v[22:23]
	v_mov_b32_e32 v9, v3
	v_mov_b32_e32 v3, v11
	;; [unrolled: 1-line block ×3, first 2 shown]
	ds_write_b64 v71, v[2:3] offset:2560
	s_waitcnt vmcnt(0)
	v_pk_mul_f32 v[2:3], v[0:1], v[72:73] op_sel:[0,1]
	ds_write2_b64 v71, v[4:5], v[8:9] offset1:160
	v_pk_fma_f32 v[4:5], v[0:1], v[72:73], v[2:3] op_sel:[0,0,1] op_sel_hi:[1,1,0] neg_lo:[0,0,1] neg_hi:[0,0,1]
	v_pk_fma_f32 v[0:1], v[0:1], v[72:73], v[2:3] op_sel:[0,0,1] op_sel_hi:[1,0,0]
	v_lshl_add_u32 v8, v49, 3, 0
	v_mov_b32_e32 v0, v75
	v_mov_b32_e32 v5, v1
	v_pk_mul_f32 v[0:1], v[6:7], v[0:1] op_sel_hi:[1,0]
	v_pk_add_f32 v[24:25], v[24:25], v[54:55]
	v_pk_fma_f32 v[2:3], v[6:7], v[74:75], v[0:1] op_sel:[0,0,1] op_sel_hi:[1,1,0] neg_lo:[0,0,1] neg_hi:[0,0,1]
	v_pk_fma_f32 v[0:1], v[6:7], v[74:75], v[0:1] op_sel:[0,0,1] op_sel_hi:[1,0,0]
	s_nop 0
	v_mov_b32_e32 v3, v1
	v_pk_add_f32 v[0:1], v[32:33], v[4:5]
	v_pk_add_f32 v[6:7], v[4:5], v[2:3]
	;; [unrolled: 1-line block ×3, first 2 shown]
	v_pk_add_f32 v[2:3], v[4:5], v[2:3] neg_lo:[0,1] neg_hi:[0,1]
	v_pk_fma_f32 v[6:7], v[6:7], 0.5, v[32:33] op_sel_hi:[1,0,1] neg_lo:[1,0,0] neg_hi:[1,0,0]
	v_pk_mul_f32 v[2:3], v[2:3], s[6:7] op_sel_hi:[1,0]
	s_nop 0
	v_pk_add_f32 v[4:5], v[6:7], v[2:3] op_sel:[0,1] op_sel_hi:[1,0]
	v_pk_add_f32 v[2:3], v[6:7], v[2:3] op_sel:[0,1] op_sel_hi:[1,0] neg_lo:[0,1] neg_hi:[0,1]
	v_mov_b32_e32 v6, v4
	v_mov_b32_e32 v7, v3
	v_add_u32_e32 v3, 0x1c00, v8
	ds_write2_b64 v3, v[0:1], v[6:7] offset0:64 offset1:224
	v_mov_b32_e32 v3, v5
	ds_write_b64 v8, v[2:3] offset:10240
	s_and_saveexec_b64 s[4:5], vcc
	s_cbranch_execz .LBB0_19
; %bb.18:
	v_lshl_add_u32 v2, v36, 3, 0
	v_mov_b32_e32 v0, v28
	v_mov_b32_e32 v1, v27
	v_add_u32_e32 v3, 0x1c00, v2
	ds_write2_b64 v3, v[24:25], v[0:1] offset0:64 offset1:224
	v_mov_b32_e32 v0, v26
	v_mov_b32_e32 v1, v29
	ds_write_b64 v2, v[0:1] offset:10240
.LBB0_19:
	s_or_b64 exec, exec, s[4:5]
	v_add_u32_e32 v0, 0xc00, v70
	s_waitcnt lgkmcnt(0)
	s_barrier
	ds_read2_b64 v[20:23], v0 offset0:96 offset1:186
	v_add_u32_e32 v0, 0x1800, v70
	v_add_u32_e32 v4, 0x2000, v70
	ds_read2_b64 v[0:3], v0 offset0:72 offset1:192
	ds_read_b64 v[34:35], v46
	ds_read2_b64 v[12:15], v4 offset0:26 offset1:116
	v_add_u32_e32 v4, 0x400, v47
	ds_read2_b64 v[8:11], v4 offset0:52 offset1:142
	v_add_u32_e32 v4, 0x1000, v70
	;; [unrolled: 2-line block ×3, first 2 shown]
	ds_read2_b64 v[4:7], v4 offset0:78 offset1:168
	ds_read_b64 v[36:37], v70
	ds_read_b64 v[32:33], v47 offset:2880
	s_and_saveexec_b64 s[4:5], s[2:3]
	s_xor_b64 s[2:3], exec, s[4:5]
	s_andn2_saveexec_b64 s[2:3], s[2:3]
	s_cbranch_execz .LBB0_21
; %bb.20:
	ds_read_b64 v[38:39], v70 offset:7440
	ds_read_b64 v[26:27], v70 offset:11280
	ds_read_b64 v[24:25], v47 offset:3600
	s_waitcnt lgkmcnt(2)
	v_mov_b32_e32 v28, v38
	s_waitcnt lgkmcnt(1)
	v_mov_b32_e32 v29, v27
	v_mov_b32_e32 v27, v39
.LBB0_21:
	s_or_b64 exec, exec, s[2:3]
	global_load_dwordx4 v[50:53], v[30:31], off offset:3760
	v_lshlrev_b32_e32 v30, 1, v44
	v_mov_b32_e32 v31, 0
	v_lshl_add_u64 v[38:39], v[30:31], 3, s[8:9]
	v_mov_b32_e32 v30, 0x168
	v_lshl_add_u32 v30, v40, 1, v30
	global_load_dwordx4 v[54:57], v[38:39], off offset:3760
	v_lshl_add_u64 v[38:39], v[30:31], 3, s[8:9]
	v_lshlrev_b32_e32 v30, 1, v45
	global_load_dwordx4 v[58:61], v[38:39], off offset:3760
	v_lshl_add_u64 v[38:39], v[30:31], 3, s[8:9]
	global_load_dwordx4 v[62:65], v[38:39], off offset:3760
	v_lshlrev_b32_e32 v30, 1, v48
	v_lshl_add_u64 v[38:39], v[30:31], 3, s[8:9]
	global_load_dwordx4 v[66:69], v[38:39], off offset:3760
	s_mov_b32 s2, 0x3f5db3d7
	s_waitcnt lgkmcnt(0)
	s_barrier
	s_waitcnt vmcnt(4)
	v_pk_mul_f32 v[38:39], v[50:51], v[20:21] op_sel:[0,1]
	v_pk_mul_f32 v[48:49], v[52:53], v[2:3] op_sel:[0,1]
	v_pk_fma_f32 v[72:73], v[50:51], v[20:21], v[38:39] op_sel:[0,0,1] op_sel_hi:[1,1,0] neg_lo:[0,0,1] neg_hi:[0,0,1]
	v_pk_fma_f32 v[20:21], v[50:51], v[20:21], v[38:39] op_sel:[0,0,1] op_sel_hi:[1,0,0]
	v_pk_fma_f32 v[38:39], v[52:53], v[2:3], v[48:49] op_sel:[0,0,1] op_sel_hi:[1,1,0] neg_lo:[0,0,1] neg_hi:[0,0,1]
	v_pk_fma_f32 v[2:3], v[52:53], v[2:3], v[48:49] op_sel:[0,0,1] op_sel_hi:[1,0,0]
	v_mov_b32_e32 v73, v21
	v_mov_b32_e32 v39, v3
	s_waitcnt vmcnt(3)
	v_pk_mul_f32 v[2:3], v[54:55], v[22:23] op_sel:[0,1]
	v_pk_mul_f32 v[20:21], v[56:57], v[12:13] op_sel:[0,1]
	v_pk_add_f32 v[48:49], v[36:37], v[72:73]
	v_pk_add_f32 v[50:51], v[72:73], v[38:39]
	v_pk_add_f32 v[52:53], v[72:73], v[38:39] neg_lo:[0,1] neg_hi:[0,1]
	v_pk_fma_f32 v[72:73], v[54:55], v[22:23], v[2:3] op_sel:[0,0,1] op_sel_hi:[1,1,0] neg_lo:[0,0,1] neg_hi:[0,0,1]
	v_pk_fma_f32 v[2:3], v[54:55], v[22:23], v[2:3] op_sel:[0,0,1] op_sel_hi:[1,0,0]
	v_pk_fma_f32 v[22:23], v[56:57], v[12:13], v[20:21] op_sel:[0,0,1] op_sel_hi:[1,1,0] neg_lo:[0,0,1] neg_hi:[0,0,1]
	v_pk_fma_f32 v[12:13], v[56:57], v[12:13], v[20:21] op_sel:[0,0,1] op_sel_hi:[1,0,0]
	v_pk_add_f32 v[20:21], v[48:49], v[38:39]
	s_waitcnt vmcnt(2)
	v_pk_mul_f32 v[38:39], v[58:59], v[16:17] op_sel:[0,1]
	v_pk_mul_f32 v[48:49], v[60:61], v[14:15] op_sel:[0,1]
	s_waitcnt vmcnt(1)
	v_pk_mul_f32 v[54:55], v[62:63], v[18:19] op_sel:[0,1]
	v_mov_b32_e32 v2, v65
	v_pk_fma_f32 v[36:37], v[50:51], 0.5, v[36:37] op_sel_hi:[1,0,1] neg_lo:[1,0,0] neg_hi:[1,0,0]
	v_pk_mul_f32 v[50:51], v[52:53], s[2:3] op_sel_hi:[1,0]
	v_mov_b32_e32 v73, v3
	v_mov_b32_e32 v23, v13
	v_pk_fma_f32 v[12:13], v[58:59], v[16:17], v[38:39] op_sel:[0,0,1] op_sel_hi:[1,1,0] neg_lo:[0,0,1] neg_hi:[0,0,1]
	v_pk_fma_f32 v[16:17], v[58:59], v[16:17], v[38:39] op_sel:[0,0,1] op_sel_hi:[1,0,0]
	v_pk_fma_f32 v[38:39], v[60:61], v[14:15], v[48:49] op_sel:[0,0,1] op_sel_hi:[1,1,0] neg_lo:[0,0,1] neg_hi:[0,0,1]
	v_pk_fma_f32 v[14:15], v[60:61], v[14:15], v[48:49] op_sel:[0,0,1] op_sel_hi:[1,0,0]
	v_pk_fma_f32 v[48:49], v[62:63], v[18:19], v[54:55] op_sel:[0,0,1] op_sel_hi:[1,1,0] neg_lo:[0,0,1] neg_hi:[0,0,1]
	v_pk_fma_f32 v[18:19], v[62:63], v[18:19], v[54:55] op_sel:[0,0,1] op_sel_hi:[1,0,0]
	v_pk_mul_f32 v[2:3], v[4:5], v[2:3] op_sel_hi:[1,0]
	v_pk_add_f32 v[52:53], v[36:37], v[50:51] op_sel:[0,1] op_sel_hi:[1,0]
	v_pk_add_f32 v[36:37], v[36:37], v[50:51] op_sel:[0,1] op_sel_hi:[1,0] neg_lo:[0,1] neg_hi:[0,1]
	v_pk_add_f32 v[50:51], v[34:35], v[72:73]
	ds_write_b64 v70, v[20:21]
	v_pk_add_f32 v[20:21], v[72:73], v[22:23]
	v_pk_add_f32 v[54:55], v[72:73], v[22:23] neg_lo:[0,1] neg_hi:[0,1]
	v_mov_b32_e32 v13, v17
	v_mov_b32_e32 v39, v15
	v_mov_b32_e32 v49, v19
	v_pk_fma_f32 v[14:15], v[4:5], v[64:65], v[2:3] op_sel:[0,0,1] op_sel_hi:[1,1,0] neg_lo:[0,0,1] neg_hi:[0,0,1]
	v_pk_fma_f32 v[2:3], v[4:5], v[64:65], v[2:3] op_sel:[0,0,1] op_sel_hi:[1,0,0]
	v_pk_add_f32 v[4:5], v[50:51], v[22:23]
	v_mov_b32_e32 v16, v52
	v_mov_b32_e32 v17, v37
	v_pk_fma_f32 v[18:19], v[20:21], 0.5, v[34:35] op_sel_hi:[1,0,1] neg_lo:[1,0,0] neg_hi:[1,0,0]
	v_pk_mul_f32 v[20:21], v[54:55], s[2:3] op_sel_hi:[1,0]
	v_mov_b32_e32 v37, v53
	v_pk_add_f32 v[22:23], v[8:9], v[12:13]
	ds_write_b64 v70, v[16:17] offset:3840
	ds_write_b64 v70, v[36:37] offset:7680
	ds_write_b64 v46, v[4:5]
	v_pk_add_f32 v[4:5], v[18:19], v[20:21] op_sel:[0,1] op_sel_hi:[1,0]
	v_pk_add_f32 v[16:17], v[18:19], v[20:21] op_sel:[0,1] op_sel_hi:[1,0] neg_lo:[0,1] neg_hi:[0,1]
	v_pk_add_f32 v[18:19], v[12:13], v[38:39]
	v_pk_add_f32 v[12:13], v[12:13], v[38:39] neg_lo:[0,1] neg_hi:[0,1]
	v_pk_add_f32 v[20:21], v[22:23], v[38:39]
	v_mov_b32_e32 v22, v4
	v_mov_b32_e32 v23, v17
	;; [unrolled: 1-line block ×3, first 2 shown]
	v_pk_fma_f32 v[4:5], v[18:19], 0.5, v[8:9] op_sel_hi:[1,0,1] neg_lo:[1,0,0] neg_hi:[1,0,0]
	v_pk_mul_f32 v[8:9], v[12:13], s[2:3] op_sel_hi:[1,0]
	v_mov_b32_e32 v15, v3
	v_pk_add_f32 v[2:3], v[10:11], v[48:49]
	v_pk_add_f32 v[12:13], v[4:5], v[8:9] op_sel:[0,1] op_sel_hi:[1,0]
	v_pk_add_f32 v[2:3], v[2:3], v[14:15]
	v_pk_add_f32 v[4:5], v[4:5], v[8:9] op_sel:[0,1] op_sel_hi:[1,0] neg_lo:[0,1] neg_hi:[0,1]
	v_mov_b32_e32 v8, v12
	v_add_u32_e32 v12, 0x400, v47
	ds_write_b64 v46, v[22:23] offset:3840
	ds_write_b64 v46, v[16:17] offset:7680
	ds_write2_b64 v12, v[20:21], v[2:3] offset0:52 offset1:142
	v_pk_add_f32 v[2:3], v[48:49], v[14:15]
	v_mov_b32_e32 v9, v5
	v_pk_fma_f32 v[2:3], v[2:3], 0.5, v[10:11] op_sel_hi:[1,0,1] neg_lo:[1,0,0] neg_hi:[1,0,0]
	v_pk_add_f32 v[10:11], v[48:49], v[14:15] neg_lo:[0,1] neg_hi:[0,1]
	v_mov_b32_e32 v5, v13
	v_pk_mul_f32 v[10:11], v[10:11], s[2:3] op_sel_hi:[1,0]
	s_nop 0
	v_pk_add_f32 v[12:13], v[2:3], v[10:11] op_sel:[0,1] op_sel_hi:[1,0]
	v_pk_add_f32 v[2:3], v[2:3], v[10:11] op_sel:[0,1] op_sel_hi:[1,0] neg_lo:[0,1] neg_hi:[0,1]
	v_mov_b32_e32 v10, v12
	v_mov_b32_e32 v11, v3
	v_add_u32_e32 v3, 0x1000, v47
	ds_write2_b64 v3, v[8:9], v[10:11] offset0:148 offset1:238
	v_mov_b32_e32 v3, v13
	v_add_u32_e32 v8, 0x2000, v47
	ds_write2_b64 v8, v[4:5], v[2:3] offset0:116 offset1:206
	s_waitcnt vmcnt(0)
	v_pk_mul_f32 v[2:3], v[0:1], v[66:67] op_sel:[0,1]
	s_nop 0
	v_pk_fma_f32 v[4:5], v[0:1], v[66:67], v[2:3] op_sel:[0,0,1] op_sel_hi:[1,1,0] neg_lo:[0,0,1] neg_hi:[0,0,1]
	v_pk_fma_f32 v[0:1], v[0:1], v[66:67], v[2:3] op_sel:[0,0,1] op_sel_hi:[1,0,0]
	s_nop 0
	v_mov_b32_e32 v0, v69
	v_mov_b32_e32 v5, v1
	v_pk_mul_f32 v[0:1], v[6:7], v[0:1] op_sel_hi:[1,0]
	s_nop 0
	v_pk_fma_f32 v[2:3], v[6:7], v[68:69], v[0:1] op_sel:[0,0,1] op_sel_hi:[1,1,0] neg_lo:[0,0,1] neg_hi:[0,0,1]
	v_pk_fma_f32 v[0:1], v[6:7], v[68:69], v[0:1] op_sel:[0,0,1] op_sel_hi:[1,0,0]
	s_nop 0
	v_mov_b32_e32 v3, v1
	v_pk_add_f32 v[0:1], v[32:33], v[4:5]
	s_nop 0
	v_pk_add_f32 v[0:1], v[0:1], v[2:3]
	ds_write_b64 v47, v[0:1] offset:2880
	v_pk_add_f32 v[0:1], v[4:5], v[2:3]
	v_pk_add_f32 v[2:3], v[4:5], v[2:3] neg_lo:[0,1] neg_hi:[0,1]
	v_pk_fma_f32 v[0:1], v[0:1], 0.5, v[32:33] op_sel_hi:[1,0,1] neg_lo:[1,0,0] neg_hi:[1,0,0]
	v_pk_mul_f32 v[2:3], v[2:3], s[2:3] op_sel_hi:[1,0]
	s_nop 0
	v_pk_add_f32 v[4:5], v[0:1], v[2:3] op_sel:[0,1] op_sel_hi:[1,0]
	v_pk_add_f32 v[0:1], v[0:1], v[2:3] op_sel:[0,1] op_sel_hi:[1,0] neg_lo:[0,1] neg_hi:[0,1]
	v_mov_b32_e32 v2, v4
	v_mov_b32_e32 v3, v1
	v_mov_b32_e32 v1, v5
	ds_write_b64 v47, v[2:3] offset:6720
	ds_write_b64 v47, v[0:1] offset:10560
	s_and_saveexec_b64 s[4:5], vcc
	s_cbranch_execz .LBB0_23
; %bb.22:
	v_subrev_u32_e32 v0, 30, v40
	v_cndmask_b32_e32 v0, v0, v41, vcc
	v_lshlrev_b32_e32 v30, 1, v0
	v_lshl_add_u64 v[0:1], v[30:31], 3, s[8:9]
	global_load_dwordx4 v[0:3], v[0:1], off offset:3760
	s_waitcnt vmcnt(0)
	v_pk_mul_f32 v[4:5], v[26:27], v[0:1] op_sel:[1,0]
	v_pk_mul_f32 v[6:7], v[28:29], v[2:3] op_sel:[1,0]
	v_pk_fma_f32 v[8:9], v[28:29], v[0:1], v[4:5] op_sel:[0,0,1] op_sel_hi:[1,1,0] neg_lo:[0,0,1] neg_hi:[0,0,1]
	v_pk_fma_f32 v[0:1], v[28:29], v[0:1], v[4:5] op_sel:[0,0,1] op_sel_hi:[0,1,0]
	v_pk_fma_f32 v[4:5], v[26:27], v[2:3], v[6:7] op_sel:[0,0,1] op_sel_hi:[1,1,0] neg_lo:[0,0,1] neg_hi:[0,0,1]
	v_pk_fma_f32 v[2:3], v[26:27], v[2:3], v[6:7] op_sel:[0,0,1] op_sel_hi:[0,1,0]
	v_mov_b32_e32 v9, v1
	v_mov_b32_e32 v5, v3
	v_pk_add_f32 v[0:1], v[24:25], v[8:9]
	v_pk_add_f32 v[2:3], v[8:9], v[4:5]
	v_pk_add_f32 v[6:7], v[8:9], v[4:5] neg_lo:[0,1] neg_hi:[0,1]
	v_pk_add_f32 v[0:1], v[0:1], v[4:5]
	v_pk_fma_f32 v[2:3], -0.5, v[2:3], v[24:25] op_sel_hi:[0,1,1]
	v_pk_mul_f32 v[4:5], v[6:7], s[2:3] op_sel_hi:[1,0]
	ds_write_b64 v70, v[0:1] offset:3600
	v_pk_add_f32 v[0:1], v[2:3], v[4:5] op_sel:[0,1] op_sel_hi:[1,0]
	v_pk_add_f32 v[2:3], v[2:3], v[4:5] op_sel:[0,1] op_sel_hi:[1,0] neg_lo:[0,1] neg_hi:[0,1]
	v_mov_b32_e32 v4, v0
	v_mov_b32_e32 v5, v3
	v_mov_b32_e32 v3, v1
	ds_write_b64 v70, v[4:5] offset:7440
	ds_write_b64 v70, v[2:3] offset:11280
.LBB0_23:
	s_or_b64 exec, exec, s[4:5]
	s_waitcnt lgkmcnt(0)
	s_barrier
	ds_read_b64 v[6:7], v70
	s_add_u32 s2, s8, 0x2cb0
	v_lshlrev_b32_e32 v0, 3, v40
	s_addc_u32 s3, s9, 0
	v_sub_u32_e32 v8, 0, v0
	v_cmp_ne_u32_e32 vcc, 0, v40
                                        ; implicit-def: $vgpr5
                                        ; implicit-def: $vgpr2_vgpr3
                                        ; implicit-def: $vgpr0_vgpr1
	s_and_saveexec_b64 s[4:5], vcc
	s_xor_b64 s[4:5], exec, s[4:5]
	s_cbranch_execz .LBB0_25
; %bb.24:
	v_mov_b32_e32 v41, 0
	v_lshl_add_u64 v[0:1], v[40:41], 3, s[2:3]
	global_load_dwordx2 v[0:1], v[0:1], off
	ds_read_b64 v[2:3], v8 offset:11520
	v_mov_b32_e32 v5, 0.5
	v_mov_b32_e32 v10, v5
	s_waitcnt lgkmcnt(0)
	v_pk_add_f32 v[12:13], v[2:3], v[6:7]
	v_pk_add_f32 v[2:3], v[6:7], v[2:3] neg_lo:[0,1] neg_hi:[0,1]
	v_mov_b32_e32 v6, v13
	v_mov_b32_e32 v7, v2
	v_pk_mul_f32 v[6:7], v[6:7], 0.5 op_sel_hi:[1,0]
	s_waitcnt vmcnt(0)
	v_mov_b32_e32 v4, v1
	v_mov_b32_e32 v2, v7
	;; [unrolled: 1-line block ×4, first 2 shown]
	v_pk_mul_f32 v[2:3], v[4:5], v[2:3]
	v_pk_mul_f32 v[14:15], v[0:1], v[6:7] op_sel_hi:[0,1]
	v_pk_fma_f32 v[16:17], v[12:13], v[10:11], v[2:3]
	v_pk_fma_f32 v[2:3], v[12:13], v[10:11], v[2:3] neg_lo:[0,0,1] neg_hi:[0,0,1]
	v_pk_fma_f32 v[4:5], v[0:1], v[6:7], v[16:17] op_sel_hi:[0,1,1] neg_lo:[1,0,0] neg_hi:[1,0,0]
	v_pk_fma_f32 v[2:3], v[0:1], v[6:7], v[2:3] op_sel_hi:[0,1,1] neg_lo:[1,0,0] neg_hi:[1,0,0]
	v_add_f32_e32 v4, v16, v14
	v_mov_b64_e32 v[0:1], v[40:41]
                                        ; implicit-def: $vgpr6_vgpr7
.LBB0_25:
	s_andn2_saveexec_b64 s[4:5], s[4:5]
	s_cbranch_execz .LBB0_27
; %bb.26:
	s_waitcnt lgkmcnt(0)
	v_mov_b32_e32 v0, v7
	v_pk_add_f32 v[2:3], v[6:7], v[0:1] neg_lo:[0,1] neg_hi:[0,1]
	v_add_f32_e32 v4, v7, v6
	v_mov_b32_e32 v3, 0
	ds_read_b32 v5, v3 offset:5764
	v_mov_b64_e32 v[0:1], 0
	s_waitcnt lgkmcnt(0)
	v_xor_b32_e32 v5, 0x80000000, v5
	ds_write_b32 v3, v5 offset:5764
	v_mov_b32_e32 v5, v3
.LBB0_27:
	s_or_b64 exec, exec, s[4:5]
	v_mov_b32_e32 v45, 0
	s_waitcnt lgkmcnt(0)
	v_lshl_add_u64 v[6:7], v[44:45], 3, s[2:3]
	global_load_dwordx2 v[6:7], v[6:7], off
	v_lshl_add_u64 v[10:11], v[0:1], 3, s[2:3]
	global_load_dwordx2 v[12:13], v[10:11], off offset:1440
	global_load_dwordx2 v[14:15], v[10:11], off offset:2160
	;; [unrolled: 1-line block ×3, first 2 shown]
	ds_write_b64 v70, v[4:5]
	ds_write_b64 v8, v[2:3] offset:11520
	ds_read_b64 v[4:5], v46
	ds_read_b64 v[18:19], v8 offset:10800
	global_load_dwordx2 v[24:25], v[10:11], off offset:3600
	v_mov_b32_e32 v3, 0.5
	v_mov_b32_e32 v20, v3
	s_movk_i32 s2, 0x1000
	s_waitcnt lgkmcnt(0)
	v_pk_add_f32 v[26:27], v[4:5], v[18:19]
	v_pk_add_f32 v[4:5], v[4:5], v[18:19] neg_lo:[0,1] neg_hi:[0,1]
	v_mov_b32_e32 v18, v27
	v_mov_b32_e32 v19, v4
	v_pk_mul_f32 v[18:19], v[18:19], 0.5 op_sel_hi:[1,0]
	v_add_co_u32_e32 v10, vcc, s2, v10
	v_mov_b32_e32 v27, v18
	v_mov_b32_e32 v4, v19
	v_addc_co_u32_e32 v11, vcc, 0, v11, vcc
	v_mov_b32_e32 v22, v3
	s_waitcnt vmcnt(3)
	v_mov_b32_e32 v23, v13
	v_mov_b32_e32 v21, v7
	;; [unrolled: 1-line block ×3, first 2 shown]
	v_pk_mul_f32 v[20:21], v[26:27], v[20:21]
	s_nop 0
	v_pk_fma_f32 v[26:27], v[2:3], v[4:5], v[20:21] neg_lo:[1,0,0] neg_hi:[1,0,0]
	v_pk_fma_f32 v[4:5], v[2:3], v[4:5], v[20:21]
	v_pk_fma_f32 v[20:21], v[6:7], v[18:19], v[26:27] op_sel_hi:[0,1,1] neg_lo:[1,0,0] neg_hi:[1,0,0]
	v_pk_fma_f32 v[26:27], v[6:7], v[18:19], v[4:5] op_sel_hi:[0,1,1]
	v_pk_fma_f32 v[4:5], v[6:7], v[18:19], v[4:5] op_sel_hi:[0,1,1] neg_lo:[1,0,0] neg_hi:[1,0,0]
	v_mov_b32_e32 v27, v5
	ds_write_b64 v46, v[26:27]
	ds_write_b64 v8, v[20:21] offset:10800
	ds_read_b64 v[4:5], v47 offset:1440
	ds_read_b64 v[6:7], v8 offset:10080
	global_load_dwordx2 v[20:21], v[10:11], off offset:224
	v_mov_b32_e32 v2, v13
	s_waitcnt lgkmcnt(0)
	v_pk_add_f32 v[18:19], v[4:5], v[6:7]
	v_pk_add_f32 v[4:5], v[4:5], v[6:7] neg_lo:[0,1] neg_hi:[0,1]
	v_mov_b32_e32 v6, v19
	v_mov_b32_e32 v7, v4
	v_pk_mul_f32 v[6:7], v[6:7], 0.5 op_sel_hi:[1,0]
	s_nop 0
	v_mov_b32_e32 v19, v6
	v_mov_b32_e32 v4, v7
	v_pk_mul_f32 v[18:19], v[18:19], v[22:23]
	s_nop 0
	v_pk_fma_f32 v[22:23], v[2:3], v[4:5], v[18:19] neg_lo:[1,0,0] neg_hi:[1,0,0]
	v_pk_fma_f32 v[4:5], v[2:3], v[4:5], v[18:19]
	v_pk_fma_f32 v[18:19], v[12:13], v[6:7], v[22:23] op_sel_hi:[0,1,1] neg_lo:[1,0,0] neg_hi:[1,0,0]
	v_pk_fma_f32 v[22:23], v[12:13], v[6:7], v[4:5] op_sel_hi:[0,1,1]
	v_pk_fma_f32 v[4:5], v[12:13], v[6:7], v[4:5] op_sel_hi:[0,1,1] neg_lo:[1,0,0] neg_hi:[1,0,0]
	v_mov_b32_e32 v23, v5
	ds_write_b64 v47, v[22:23] offset:1440
	ds_write_b64 v8, v[18:19] offset:10080
	ds_read_b64 v[4:5], v47 offset:2160
	ds_read_b64 v[6:7], v8 offset:9360
	global_load_dwordx2 v[10:11], v[10:11], off offset:944
	v_mov_b32_e32 v12, v3
	s_waitcnt vmcnt(4)
	v_mov_b32_e32 v13, v15
	v_mov_b32_e32 v2, v15
	s_waitcnt lgkmcnt(0)
	v_pk_add_f32 v[18:19], v[4:5], v[6:7]
	v_pk_add_f32 v[4:5], v[4:5], v[6:7] neg_lo:[0,1] neg_hi:[0,1]
	v_mov_b32_e32 v6, v19
	v_mov_b32_e32 v7, v4
	v_pk_mul_f32 v[6:7], v[6:7], 0.5 op_sel_hi:[1,0]
	s_nop 0
	v_mov_b32_e32 v19, v6
	v_mov_b32_e32 v4, v7
	v_pk_mul_f32 v[12:13], v[18:19], v[12:13]
	s_nop 0
	v_pk_fma_f32 v[18:19], v[2:3], v[4:5], v[12:13] neg_lo:[1,0,0] neg_hi:[1,0,0]
	v_pk_fma_f32 v[4:5], v[2:3], v[4:5], v[12:13]
	v_pk_fma_f32 v[12:13], v[14:15], v[6:7], v[18:19] op_sel_hi:[0,1,1] neg_lo:[1,0,0] neg_hi:[1,0,0]
	v_pk_fma_f32 v[18:19], v[14:15], v[6:7], v[4:5] op_sel_hi:[0,1,1]
	v_pk_fma_f32 v[4:5], v[14:15], v[6:7], v[4:5] op_sel_hi:[0,1,1] neg_lo:[1,0,0] neg_hi:[1,0,0]
	v_mov_b32_e32 v19, v5
	ds_write_b64 v47, v[18:19] offset:2160
	ds_write_b64 v8, v[12:13] offset:9360
	ds_read_b64 v[4:5], v47 offset:2880
	ds_read_b64 v[6:7], v8 offset:8640
	v_mov_b32_e32 v12, v3
	s_waitcnt vmcnt(3)
	v_mov_b32_e32 v13, v17
	v_mov_b32_e32 v2, v17
	s_waitcnt lgkmcnt(0)
	v_pk_add_f32 v[14:15], v[4:5], v[6:7]
	v_pk_add_f32 v[4:5], v[4:5], v[6:7] neg_lo:[0,1] neg_hi:[0,1]
	v_mov_b32_e32 v6, v15
	v_mov_b32_e32 v7, v4
	v_pk_mul_f32 v[6:7], v[6:7], 0.5 op_sel_hi:[1,0]
	s_nop 0
	v_mov_b32_e32 v15, v6
	v_mov_b32_e32 v4, v7
	v_pk_mul_f32 v[12:13], v[14:15], v[12:13]
	s_nop 0
	v_pk_fma_f32 v[14:15], v[2:3], v[4:5], v[12:13] neg_lo:[1,0,0] neg_hi:[1,0,0]
	v_pk_fma_f32 v[4:5], v[2:3], v[4:5], v[12:13]
	v_pk_fma_f32 v[12:13], v[16:17], v[6:7], v[14:15] op_sel_hi:[0,1,1] neg_lo:[1,0,0] neg_hi:[1,0,0]
	v_pk_fma_f32 v[14:15], v[16:17], v[6:7], v[4:5] op_sel_hi:[0,1,1]
	v_pk_fma_f32 v[4:5], v[16:17], v[6:7], v[4:5] op_sel_hi:[0,1,1] neg_lo:[1,0,0] neg_hi:[1,0,0]
	v_mov_b32_e32 v15, v5
	ds_write_b64 v47, v[14:15] offset:2880
	ds_write_b64 v8, v[12:13] offset:8640
	ds_read_b64 v[4:5], v47 offset:3600
	ds_read_b64 v[6:7], v8 offset:7920
	;; [unrolled: 25-line block ×4, first 2 shown]
	v_mov_b32_e32 v12, v3
	s_waitcnt vmcnt(0)
	v_mov_b32_e32 v13, v11
	v_mov_b32_e32 v2, v11
	s_waitcnt lgkmcnt(0)
	v_pk_add_f32 v[14:15], v[4:5], v[6:7]
	v_pk_add_f32 v[4:5], v[4:5], v[6:7] neg_lo:[0,1] neg_hi:[0,1]
	v_mov_b32_e32 v6, v15
	v_mov_b32_e32 v7, v4
	v_pk_mul_f32 v[6:7], v[6:7], 0.5 op_sel_hi:[1,0]
	s_nop 0
	v_mov_b32_e32 v15, v6
	v_mov_b32_e32 v4, v7
	v_pk_mul_f32 v[12:13], v[14:15], v[12:13]
	s_nop 0
	v_pk_fma_f32 v[14:15], v[2:3], v[4:5], v[12:13] neg_lo:[1,0,0] neg_hi:[1,0,0]
	v_pk_fma_f32 v[2:3], v[2:3], v[4:5], v[12:13]
	v_pk_fma_f32 v[4:5], v[10:11], v[6:7], v[14:15] op_sel_hi:[0,1,1] neg_lo:[1,0,0] neg_hi:[1,0,0]
	v_pk_fma_f32 v[12:13], v[10:11], v[6:7], v[2:3] op_sel_hi:[0,1,1]
	v_pk_fma_f32 v[2:3], v[10:11], v[6:7], v[2:3] op_sel_hi:[0,1,1] neg_lo:[1,0,0] neg_hi:[1,0,0]
	v_mov_b32_e32 v13, v3
	ds_write_b64 v70, v[12:13] offset:5040
	ds_write_b64 v8, v[4:5] offset:6480
	s_waitcnt lgkmcnt(0)
	s_barrier
	s_and_saveexec_b64 s[4:5], s[0:1]
	s_cbranch_execz .LBB0_30
; %bb.28:
	v_lshl_add_u64 v[12:13], v[0:1], 3, v[42:43]
	ds_read2_b64 v[0:3], v70 offset1:90
	v_add_u32_e32 v4, 0x400, v70
	ds_read2_b64 v[4:7], v4 offset0:52 offset1:142
	v_add_u32_e32 v8, 0x800, v70
	ds_read2_b64 v[8:11], v8 offset0:104 offset1:194
	s_waitcnt lgkmcnt(2)
	global_store_dwordx2 v[12:13], v[0:1], off
	global_store_dwordx2 v[12:13], v[2:3], off offset:720
	s_waitcnt lgkmcnt(1)
	global_store_dwordx2 v[12:13], v[4:5], off offset:1440
	global_store_dwordx2 v[12:13], v[6:7], off offset:2160
	s_waitcnt lgkmcnt(0)
	global_store_dwordx2 v[12:13], v[8:9], off offset:2880
	global_store_dwordx2 v[12:13], v[10:11], off offset:3600
	v_add_u32_e32 v0, 0x1000, v70
	ds_read2_b64 v[0:3], v0 offset0:28 offset1:118
	v_add_u32_e32 v4, 0x1400, v70
	ds_read2_b64 v[4:7], v4 offset0:80 offset1:170
	v_add_co_u32_e32 v14, vcc, s2, v12
	v_add_u32_e32 v8, 0x1800, v70
	s_nop 0
	v_addc_co_u32_e32 v15, vcc, 0, v13, vcc
	ds_read2_b64 v[8:11], v8 offset0:132 offset1:222
	s_waitcnt lgkmcnt(2)
	global_store_dwordx2 v[14:15], v[0:1], off offset:224
	global_store_dwordx2 v[14:15], v[2:3], off offset:944
	s_waitcnt lgkmcnt(1)
	global_store_dwordx2 v[14:15], v[4:5], off offset:1664
	global_store_dwordx2 v[14:15], v[6:7], off offset:2384
	s_waitcnt lgkmcnt(0)
	global_store_dwordx2 v[14:15], v[8:9], off offset:3104
	global_store_dwordx2 v[14:15], v[10:11], off offset:3824
	v_add_u32_e32 v0, 0x2000, v70
	ds_read2_b64 v[0:3], v0 offset0:56 offset1:146
	v_add_u32_e32 v4, 0x2400, v70
	v_add_co_u32_e32 v8, vcc, 0x2000, v12
	ds_read2_b64 v[4:7], v4 offset0:108 offset1:198
	s_nop 0
	v_addc_co_u32_e32 v9, vcc, 0, v13, vcc
	s_movk_i32 s0, 0x59
	v_cmp_eq_u32_e32 vcc, s0, v40
	s_waitcnt lgkmcnt(1)
	global_store_dwordx2 v[8:9], v[0:1], off offset:448
	global_store_dwordx2 v[8:9], v[2:3], off offset:1168
	s_waitcnt lgkmcnt(0)
	global_store_dwordx2 v[8:9], v[4:5], off offset:1888
	global_store_dwordx2 v[8:9], v[6:7], off offset:2608
	s_and_b64 exec, exec, vcc
	s_cbranch_execz .LBB0_30
; %bb.29:
	v_mov_b32_e32 v0, 0
	ds_read_b64 v[0:1], v0 offset:11520
	v_add_co_u32_e32 v2, vcc, 0x2000, v42
	s_nop 1
	v_addc_co_u32_e32 v3, vcc, 0, v43, vcc
	s_waitcnt lgkmcnt(0)
	global_store_dwordx2 v[2:3], v[0:1], off offset:3328
.LBB0_30:
	s_endpgm
	.section	.rodata,"a",@progbits
	.p2align	6, 0x0
	.amdhsa_kernel fft_rtc_fwd_len1440_factors_10_16_3_3_wgs_90_tpt_90_halfLds_sp_ip_CI_unitstride_sbrr_R2C_dirReg
		.amdhsa_group_segment_fixed_size 0
		.amdhsa_private_segment_fixed_size 0
		.amdhsa_kernarg_size 88
		.amdhsa_user_sgpr_count 2
		.amdhsa_user_sgpr_dispatch_ptr 0
		.amdhsa_user_sgpr_queue_ptr 0
		.amdhsa_user_sgpr_kernarg_segment_ptr 1
		.amdhsa_user_sgpr_dispatch_id 0
		.amdhsa_user_sgpr_kernarg_preload_length 0
		.amdhsa_user_sgpr_kernarg_preload_offset 0
		.amdhsa_user_sgpr_private_segment_size 0
		.amdhsa_uses_dynamic_stack 0
		.amdhsa_enable_private_segment 0
		.amdhsa_system_sgpr_workgroup_id_x 1
		.amdhsa_system_sgpr_workgroup_id_y 0
		.amdhsa_system_sgpr_workgroup_id_z 0
		.amdhsa_system_sgpr_workgroup_info 0
		.amdhsa_system_vgpr_workitem_id 0
		.amdhsa_next_free_vgpr 94
		.amdhsa_next_free_sgpr 22
		.amdhsa_accum_offset 96
		.amdhsa_reserve_vcc 1
		.amdhsa_float_round_mode_32 0
		.amdhsa_float_round_mode_16_64 0
		.amdhsa_float_denorm_mode_32 3
		.amdhsa_float_denorm_mode_16_64 3
		.amdhsa_dx10_clamp 1
		.amdhsa_ieee_mode 1
		.amdhsa_fp16_overflow 0
		.amdhsa_tg_split 0
		.amdhsa_exception_fp_ieee_invalid_op 0
		.amdhsa_exception_fp_denorm_src 0
		.amdhsa_exception_fp_ieee_div_zero 0
		.amdhsa_exception_fp_ieee_overflow 0
		.amdhsa_exception_fp_ieee_underflow 0
		.amdhsa_exception_fp_ieee_inexact 0
		.amdhsa_exception_int_div_zero 0
	.end_amdhsa_kernel
	.text
.Lfunc_end0:
	.size	fft_rtc_fwd_len1440_factors_10_16_3_3_wgs_90_tpt_90_halfLds_sp_ip_CI_unitstride_sbrr_R2C_dirReg, .Lfunc_end0-fft_rtc_fwd_len1440_factors_10_16_3_3_wgs_90_tpt_90_halfLds_sp_ip_CI_unitstride_sbrr_R2C_dirReg
                                        ; -- End function
	.section	.AMDGPU.csdata,"",@progbits
; Kernel info:
; codeLenInByte = 9920
; NumSgprs: 28
; NumVgprs: 94
; NumAgprs: 0
; TotalNumVgprs: 94
; ScratchSize: 0
; MemoryBound: 0
; FloatMode: 240
; IeeeMode: 1
; LDSByteSize: 0 bytes/workgroup (compile time only)
; SGPRBlocks: 3
; VGPRBlocks: 11
; NumSGPRsForWavesPerEU: 28
; NumVGPRsForWavesPerEU: 94
; AccumOffset: 96
; Occupancy: 5
; WaveLimiterHint : 1
; COMPUTE_PGM_RSRC2:SCRATCH_EN: 0
; COMPUTE_PGM_RSRC2:USER_SGPR: 2
; COMPUTE_PGM_RSRC2:TRAP_HANDLER: 0
; COMPUTE_PGM_RSRC2:TGID_X_EN: 1
; COMPUTE_PGM_RSRC2:TGID_Y_EN: 0
; COMPUTE_PGM_RSRC2:TGID_Z_EN: 0
; COMPUTE_PGM_RSRC2:TIDIG_COMP_CNT: 0
; COMPUTE_PGM_RSRC3_GFX90A:ACCUM_OFFSET: 23
; COMPUTE_PGM_RSRC3_GFX90A:TG_SPLIT: 0
	.text
	.p2alignl 6, 3212836864
	.fill 256, 4, 3212836864
	.type	__hip_cuid_cefcd053fecc84d4,@object ; @__hip_cuid_cefcd053fecc84d4
	.section	.bss,"aw",@nobits
	.globl	__hip_cuid_cefcd053fecc84d4
__hip_cuid_cefcd053fecc84d4:
	.byte	0                               ; 0x0
	.size	__hip_cuid_cefcd053fecc84d4, 1

	.ident	"AMD clang version 19.0.0git (https://github.com/RadeonOpenCompute/llvm-project roc-6.4.0 25133 c7fe45cf4b819c5991fe208aaa96edf142730f1d)"
	.section	".note.GNU-stack","",@progbits
	.addrsig
	.addrsig_sym __hip_cuid_cefcd053fecc84d4
	.amdgpu_metadata
---
amdhsa.kernels:
  - .agpr_count:     0
    .args:
      - .actual_access:  read_only
        .address_space:  global
        .offset:         0
        .size:           8
        .value_kind:     global_buffer
      - .offset:         8
        .size:           8
        .value_kind:     by_value
      - .actual_access:  read_only
        .address_space:  global
        .offset:         16
        .size:           8
        .value_kind:     global_buffer
      - .actual_access:  read_only
        .address_space:  global
        .offset:         24
        .size:           8
        .value_kind:     global_buffer
      - .offset:         32
        .size:           8
        .value_kind:     by_value
      - .actual_access:  read_only
        .address_space:  global
        .offset:         40
        .size:           8
        .value_kind:     global_buffer
      - .actual_access:  read_only
        .address_space:  global
        .offset:         48
        .size:           8
        .value_kind:     global_buffer
      - .offset:         56
        .size:           4
        .value_kind:     by_value
      - .actual_access:  read_only
        .address_space:  global
        .offset:         64
        .size:           8
        .value_kind:     global_buffer
      - .actual_access:  read_only
        .address_space:  global
        .offset:         72
        .size:           8
        .value_kind:     global_buffer
      - .address_space:  global
        .offset:         80
        .size:           8
        .value_kind:     global_buffer
    .group_segment_fixed_size: 0
    .kernarg_segment_align: 8
    .kernarg_segment_size: 88
    .language:       OpenCL C
    .language_version:
      - 2
      - 0
    .max_flat_workgroup_size: 90
    .name:           fft_rtc_fwd_len1440_factors_10_16_3_3_wgs_90_tpt_90_halfLds_sp_ip_CI_unitstride_sbrr_R2C_dirReg
    .private_segment_fixed_size: 0
    .sgpr_count:     28
    .sgpr_spill_count: 0
    .symbol:         fft_rtc_fwd_len1440_factors_10_16_3_3_wgs_90_tpt_90_halfLds_sp_ip_CI_unitstride_sbrr_R2C_dirReg.kd
    .uniform_work_group_size: 1
    .uses_dynamic_stack: false
    .vgpr_count:     94
    .vgpr_spill_count: 0
    .wavefront_size: 64
amdhsa.target:   amdgcn-amd-amdhsa--gfx950
amdhsa.version:
  - 1
  - 2
...

	.end_amdgpu_metadata
